;; amdgpu-corpus repo=ROCm/rocFFT kind=compiled arch=gfx906 opt=O3
	.text
	.amdgcn_target "amdgcn-amd-amdhsa--gfx906"
	.amdhsa_code_object_version 6
	.protected	fft_rtc_fwd_len150_factors_10_5_3_wgs_60_tpt_5_halfLds_sp_ip_CI_sbrr_dirReg ; -- Begin function fft_rtc_fwd_len150_factors_10_5_3_wgs_60_tpt_5_halfLds_sp_ip_CI_sbrr_dirReg
	.globl	fft_rtc_fwd_len150_factors_10_5_3_wgs_60_tpt_5_halfLds_sp_ip_CI_sbrr_dirReg
	.p2align	8
	.type	fft_rtc_fwd_len150_factors_10_5_3_wgs_60_tpt_5_halfLds_sp_ip_CI_sbrr_dirReg,@function
fft_rtc_fwd_len150_factors_10_5_3_wgs_60_tpt_5_halfLds_sp_ip_CI_sbrr_dirReg: ; @fft_rtc_fwd_len150_factors_10_5_3_wgs_60_tpt_5_halfLds_sp_ip_CI_sbrr_dirReg
; %bb.0:
	s_load_dwordx2 s[14:15], s[4:5], 0x18
	s_load_dwordx4 s[8:11], s[4:5], 0x0
	s_load_dwordx2 s[12:13], s[4:5], 0x50
	v_mul_u32_u24_e32 v1, 0x3334, v0
	v_lshrrev_b32_e32 v1, 16, v1
	s_waitcnt lgkmcnt(0)
	s_load_dwordx2 s[2:3], s[14:15], 0x0
	v_mad_u64_u32 v[2:3], s[0:1], s6, 12, v[1:2]
	v_mov_b32_e32 v6, 0
	v_cmp_lt_u64_e64 s[0:1], s[10:11], 2
	v_mov_b32_e32 v3, v6
	v_mov_b32_e32 v4, 0
	;; [unrolled: 1-line block ×3, first 2 shown]
	s_and_b64 vcc, exec, s[0:1]
	v_mov_b32_e32 v5, 0
	v_mov_b32_e32 v10, v2
	s_cbranch_vccnz .LBB0_8
; %bb.1:
	s_load_dwordx2 s[0:1], s[4:5], 0x10
	s_add_u32 s6, s14, 8
	s_addc_u32 s7, s15, 0
	v_mov_b32_e32 v4, 0
	v_mov_b32_e32 v9, v3
	s_waitcnt lgkmcnt(0)
	s_add_u32 s18, s0, 8
	s_mov_b64 s[16:17], 1
	v_mov_b32_e32 v5, 0
	s_addc_u32 s19, s1, 0
	v_mov_b32_e32 v8, v2
.LBB0_2:                                ; =>This Inner Loop Header: Depth=1
	s_load_dwordx2 s[20:21], s[18:19], 0x0
                                        ; implicit-def: $vgpr10_vgpr11
	s_waitcnt lgkmcnt(0)
	v_or_b32_e32 v7, s21, v9
	v_cmp_ne_u64_e32 vcc, 0, v[6:7]
	s_and_saveexec_b64 s[0:1], vcc
	s_xor_b64 s[22:23], exec, s[0:1]
	s_cbranch_execz .LBB0_4
; %bb.3:                                ;   in Loop: Header=BB0_2 Depth=1
	v_cvt_f32_u32_e32 v1, s20
	v_cvt_f32_u32_e32 v3, s21
	s_sub_u32 s0, 0, s20
	s_subb_u32 s1, 0, s21
	v_mac_f32_e32 v1, 0x4f800000, v3
	v_rcp_f32_e32 v1, v1
	v_mul_f32_e32 v1, 0x5f7ffffc, v1
	v_mul_f32_e32 v3, 0x2f800000, v1
	v_trunc_f32_e32 v3, v3
	v_mac_f32_e32 v1, 0xcf800000, v3
	v_cvt_u32_f32_e32 v3, v3
	v_cvt_u32_f32_e32 v1, v1
	v_mul_lo_u32 v7, s0, v3
	v_mul_hi_u32 v10, s0, v1
	v_mul_lo_u32 v12, s1, v1
	v_mul_lo_u32 v11, s0, v1
	v_add_u32_e32 v7, v10, v7
	v_add_u32_e32 v7, v7, v12
	v_mul_hi_u32 v10, v1, v11
	v_mul_lo_u32 v12, v1, v7
	v_mul_hi_u32 v14, v1, v7
	v_mul_hi_u32 v13, v3, v11
	v_mul_lo_u32 v11, v3, v11
	v_mul_hi_u32 v15, v3, v7
	v_add_co_u32_e32 v10, vcc, v10, v12
	v_addc_co_u32_e32 v12, vcc, 0, v14, vcc
	v_mul_lo_u32 v7, v3, v7
	v_add_co_u32_e32 v10, vcc, v10, v11
	v_addc_co_u32_e32 v10, vcc, v12, v13, vcc
	v_addc_co_u32_e32 v11, vcc, 0, v15, vcc
	v_add_co_u32_e32 v7, vcc, v10, v7
	v_addc_co_u32_e32 v10, vcc, 0, v11, vcc
	v_add_co_u32_e32 v1, vcc, v1, v7
	v_addc_co_u32_e32 v3, vcc, v3, v10, vcc
	v_mul_lo_u32 v7, s0, v3
	v_mul_hi_u32 v10, s0, v1
	v_mul_lo_u32 v11, s1, v1
	v_mul_lo_u32 v12, s0, v1
	v_add_u32_e32 v7, v10, v7
	v_add_u32_e32 v7, v7, v11
	v_mul_lo_u32 v13, v1, v7
	v_mul_hi_u32 v14, v1, v12
	v_mul_hi_u32 v15, v1, v7
	;; [unrolled: 1-line block ×3, first 2 shown]
	v_mul_lo_u32 v12, v3, v12
	v_mul_hi_u32 v10, v3, v7
	v_add_co_u32_e32 v13, vcc, v14, v13
	v_addc_co_u32_e32 v14, vcc, 0, v15, vcc
	v_mul_lo_u32 v7, v3, v7
	v_add_co_u32_e32 v12, vcc, v13, v12
	v_addc_co_u32_e32 v11, vcc, v14, v11, vcc
	v_addc_co_u32_e32 v10, vcc, 0, v10, vcc
	v_add_co_u32_e32 v7, vcc, v11, v7
	v_addc_co_u32_e32 v10, vcc, 0, v10, vcc
	v_add_co_u32_e32 v1, vcc, v1, v7
	v_addc_co_u32_e32 v3, vcc, v3, v10, vcc
	v_mad_u64_u32 v[10:11], s[0:1], v8, v3, 0
	v_mul_hi_u32 v7, v8, v1
	v_mad_u64_u32 v[12:13], s[0:1], v9, v3, 0
	v_add_co_u32_e32 v7, vcc, v7, v10
	v_addc_co_u32_e32 v14, vcc, 0, v11, vcc
	v_mad_u64_u32 v[10:11], s[0:1], v9, v1, 0
	v_add_co_u32_e32 v1, vcc, v7, v10
	v_addc_co_u32_e32 v1, vcc, v14, v11, vcc
	v_addc_co_u32_e32 v3, vcc, 0, v13, vcc
	v_add_co_u32_e32 v1, vcc, v1, v12
	v_addc_co_u32_e32 v3, vcc, 0, v3, vcc
	v_mul_lo_u32 v7, s21, v1
	v_mul_lo_u32 v12, s20, v3
	v_mad_u64_u32 v[10:11], s[0:1], s20, v1, 0
	v_add3_u32 v7, v11, v12, v7
	v_sub_u32_e32 v11, v9, v7
	v_mov_b32_e32 v12, s21
	v_sub_co_u32_e32 v10, vcc, v8, v10
	v_subb_co_u32_e64 v11, s[0:1], v11, v12, vcc
	v_subrev_co_u32_e64 v12, s[0:1], s20, v10
	v_subbrev_co_u32_e64 v11, s[0:1], 0, v11, s[0:1]
	v_cmp_le_u32_e64 s[0:1], s21, v11
	v_cndmask_b32_e64 v13, 0, -1, s[0:1]
	v_cmp_le_u32_e64 s[0:1], s20, v12
	v_cndmask_b32_e64 v12, 0, -1, s[0:1]
	v_cmp_eq_u32_e64 s[0:1], s21, v11
	v_cndmask_b32_e64 v11, v13, v12, s[0:1]
	v_add_co_u32_e64 v12, s[0:1], 2, v1
	v_addc_co_u32_e64 v13, s[0:1], 0, v3, s[0:1]
	v_add_co_u32_e64 v14, s[0:1], 1, v1
	v_addc_co_u32_e64 v15, s[0:1], 0, v3, s[0:1]
	v_subb_co_u32_e32 v7, vcc, v9, v7, vcc
	v_cmp_ne_u32_e64 s[0:1], 0, v11
	v_cmp_le_u32_e32 vcc, s21, v7
	v_cndmask_b32_e64 v11, v15, v13, s[0:1]
	v_cndmask_b32_e64 v13, 0, -1, vcc
	v_cmp_le_u32_e32 vcc, s20, v10
	v_cndmask_b32_e64 v10, 0, -1, vcc
	v_cmp_eq_u32_e32 vcc, s21, v7
	v_cndmask_b32_e32 v7, v13, v10, vcc
	v_cmp_ne_u32_e32 vcc, 0, v7
	v_cndmask_b32_e32 v11, v3, v11, vcc
	v_cndmask_b32_e64 v3, v14, v12, s[0:1]
	v_cndmask_b32_e32 v10, v1, v3, vcc
.LBB0_4:                                ;   in Loop: Header=BB0_2 Depth=1
	s_andn2_saveexec_b64 s[0:1], s[22:23]
	s_cbranch_execz .LBB0_6
; %bb.5:                                ;   in Loop: Header=BB0_2 Depth=1
	v_cvt_f32_u32_e32 v1, s20
	s_sub_i32 s22, 0, s20
	v_mov_b32_e32 v11, v6
	v_rcp_iflag_f32_e32 v1, v1
	v_mul_f32_e32 v1, 0x4f7ffffe, v1
	v_cvt_u32_f32_e32 v1, v1
	v_mul_lo_u32 v3, s22, v1
	v_mul_hi_u32 v3, v1, v3
	v_add_u32_e32 v1, v1, v3
	v_mul_hi_u32 v1, v8, v1
	v_mul_lo_u32 v3, v1, s20
	v_add_u32_e32 v7, 1, v1
	v_sub_u32_e32 v3, v8, v3
	v_subrev_u32_e32 v10, s20, v3
	v_cmp_le_u32_e32 vcc, s20, v3
	v_cndmask_b32_e32 v3, v3, v10, vcc
	v_cndmask_b32_e32 v1, v1, v7, vcc
	v_add_u32_e32 v7, 1, v1
	v_cmp_le_u32_e32 vcc, s20, v3
	v_cndmask_b32_e32 v10, v1, v7, vcc
.LBB0_6:                                ;   in Loop: Header=BB0_2 Depth=1
	s_or_b64 exec, exec, s[0:1]
	v_mul_lo_u32 v1, v11, s20
	v_mul_lo_u32 v3, v10, s21
	v_mad_u64_u32 v[12:13], s[0:1], v10, s20, 0
	s_load_dwordx2 s[0:1], s[6:7], 0x0
	s_add_u32 s16, s16, 1
	v_add3_u32 v1, v13, v3, v1
	v_sub_co_u32_e32 v3, vcc, v8, v12
	v_subb_co_u32_e32 v1, vcc, v9, v1, vcc
	s_waitcnt lgkmcnt(0)
	v_mul_lo_u32 v1, s0, v1
	v_mul_lo_u32 v7, s1, v3
	v_mad_u64_u32 v[4:5], s[0:1], s0, v3, v[4:5]
	s_addc_u32 s17, s17, 0
	s_add_u32 s6, s6, 8
	v_add3_u32 v5, v7, v5, v1
	v_mov_b32_e32 v7, s10
	v_mov_b32_e32 v8, s11
	s_addc_u32 s7, s7, 0
	v_cmp_ge_u64_e32 vcc, s[16:17], v[7:8]
	s_add_u32 s18, s18, 8
	s_addc_u32 s19, s19, 0
	s_cbranch_vccnz .LBB0_8
; %bb.7:                                ;   in Loop: Header=BB0_2 Depth=1
	v_mov_b32_e32 v8, v10
	v_mov_b32_e32 v9, v11
	s_branch .LBB0_2
.LBB0_8:
	s_lshl_b64 s[0:1], s[10:11], 3
	s_add_u32 s0, s14, s0
	s_addc_u32 s1, s15, s1
	s_load_dwordx2 s[6:7], s[0:1], 0x0
	s_load_dwordx2 s[10:11], s[4:5], 0x20
                                        ; implicit-def: $vgpr78
                                        ; implicit-def: $vgpr79
                                        ; implicit-def: $vgpr82
                                        ; implicit-def: $vgpr85
                                        ; implicit-def: $vgpr86
                                        ; implicit-def: $vgpr80
                                        ; implicit-def: $vgpr87
                                        ; implicit-def: $vgpr81
                                        ; implicit-def: $vgpr83
                                        ; implicit-def: $vgpr84
	s_waitcnt lgkmcnt(0)
	v_mad_u64_u32 v[3:4], s[0:1], s6, v10, v[4:5]
	s_mov_b32 s0, 0x33333334
	v_mul_lo_u32 v1, s6, v11
	v_mul_lo_u32 v6, s7, v10
	v_mul_hi_u32 v5, v0, s0
	v_cmp_gt_u64_e32 vcc, s[10:11], v[10:11]
	v_cmp_le_u64_e64 s[0:1], s[10:11], v[10:11]
	v_add3_u32 v4, v6, v4, v1
	v_mul_u32_u24_e32 v1, 5, v5
	v_sub_u32_e32 v66, v0, v1
	v_add_u32_e32 v75, 5, v66
	v_add_u32_e32 v73, 10, v66
	v_add_u32_e32 v69, 30, v66
	v_add_u32_e32 v68, 35, v66
	v_or_b32_e32 v67, 40, v66
	v_add_u32_e32 v72, 15, v66
	v_add_u32_e32 v65, 45, v66
	;; [unrolled: 1-line block ×4, first 2 shown]
	s_and_saveexec_b64 s[4:5], s[0:1]
	s_xor_b64 s[0:1], exec, s[4:5]
; %bb.9:
	v_add_u32_e32 v78, 5, v66
	v_add_u32_e32 v79, 10, v66
	;; [unrolled: 1-line block ×4, first 2 shown]
	v_or_b32_e32 v86, 40, v66
	v_add_u32_e32 v80, 15, v66
	v_add_u32_e32 v87, 45, v66
	;; [unrolled: 1-line block ×4, first 2 shown]
	v_or_b32_e32 v84, 0x50, v66
; %bb.10:
	s_or_saveexec_b64 s[4:5], s[0:1]
	v_lshlrev_b64 v[0:1], 3, v[3:4]
	v_add_u32_e32 v74, 60, v66
	v_add_u32_e32 v76, 50, v66
	;; [unrolled: 1-line block ×3, first 2 shown]
                                        ; implicit-def: $vgpr14
                                        ; implicit-def: $vgpr18
                                        ; implicit-def: $vgpr8
                                        ; implicit-def: $vgpr16
                                        ; implicit-def: $vgpr12
                                        ; implicit-def: $vgpr22
                                        ; implicit-def: $vgpr10
                                        ; implicit-def: $vgpr20
                                        ; implicit-def: $vgpr6
                                        ; implicit-def: $vgpr4
                                        ; implicit-def: $vgpr32
                                        ; implicit-def: $vgpr52
                                        ; implicit-def: $vgpr30
                                        ; implicit-def: $vgpr50
                                        ; implicit-def: $vgpr34
                                        ; implicit-def: $vgpr48
                                        ; implicit-def: $vgpr28
                                        ; implicit-def: $vgpr46
                                        ; implicit-def: $vgpr26
                                        ; implicit-def: $vgpr24
                                        ; implicit-def: $vgpr43
                                        ; implicit-def: $vgpr60
                                        ; implicit-def: $vgpr36
                                        ; implicit-def: $vgpr58
                                        ; implicit-def: $vgpr56
                                        ; implicit-def: $vgpr64
                                        ; implicit-def: $vgpr54
                                        ; implicit-def: $vgpr62
                                        ; implicit-def: $vgpr39
                                        ; implicit-def: $vgpr41
	s_xor_b64 exec, exec, s[4:5]
	s_cbranch_execz .LBB0_12
; %bb.11:
	v_mad_u64_u32 v[3:4], s[0:1], s2, v66, 0
	v_mad_u64_u32 v[7:8], s[0:1], s2, v72, 0
	;; [unrolled: 1-line block ×3, first 2 shown]
	v_mov_b32_e32 v6, s13
	v_add_co_u32_e64 v5, s[0:1], s12, v0
	v_addc_co_u32_e64 v6, s[0:1], v6, v1, s[0:1]
	v_mad_u64_u32 v[8:9], s[0:1], s3, v72, v[8:9]
	v_mad_u64_u32 v[9:10], s[0:1], s2, v69, 0
	v_lshlrev_b64 v[3:4], 3, v[3:4]
	v_lshlrev_b64 v[7:8], 3, v[7:8]
	v_add_co_u32_e64 v3, s[0:1], v5, v3
	v_addc_co_u32_e64 v4, s[0:1], v6, v4, s[0:1]
	v_mad_u64_u32 v[10:11], s[0:1], s3, v69, v[10:11]
	v_mad_u64_u32 v[11:12], s[0:1], s2, v65, 0
	v_add_co_u32_e64 v7, s[0:1], v5, v7
	v_addc_co_u32_e64 v8, s[0:1], v6, v8, s[0:1]
	v_mad_u64_u32 v[12:13], s[0:1], s3, v65, v[12:13]
	v_mad_u64_u32 v[13:14], s[0:1], s2, v74, 0
	v_lshlrev_b64 v[9:10], 3, v[9:10]
	v_add_u32_e32 v17, 0x4b, v66
	v_add_co_u32_e64 v9, s[0:1], v5, v9
	v_addc_co_u32_e64 v10, s[0:1], v6, v10, s[0:1]
	v_mad_u64_u32 v[14:15], s[0:1], s3, v74, v[14:15]
	v_mad_u64_u32 v[15:16], s[0:1], s2, v17, 0
	v_lshlrev_b64 v[11:12], 3, v[11:12]
	v_add_u32_e32 v19, 0x5a, v66
	;; [unrolled: 6-line block ×3, first 2 shown]
	v_add_co_u32_e64 v13, s[0:1], v5, v13
	v_addc_co_u32_e64 v14, s[0:1], v6, v14, s[0:1]
	v_mad_u64_u32 v[18:19], s[0:1], s3, v19, v[18:19]
	v_mad_u64_u32 v[19:20], s[0:1], s2, v21, 0
	v_lshlrev_b64 v[15:16], 3, v[15:16]
	v_or_b32_e32 v23, 0x78, v66
	v_add_co_u32_e64 v15, s[0:1], v5, v15
	v_addc_co_u32_e64 v16, s[0:1], v6, v16, s[0:1]
	v_mad_u64_u32 v[20:21], s[0:1], s3, v21, v[20:21]
	v_mad_u64_u32 v[21:22], s[0:1], s2, v23, 0
	v_lshlrev_b64 v[17:18], 3, v[17:18]
	v_add_u32_e32 v25, 0x87, v66
	v_add_co_u32_e64 v17, s[0:1], v5, v17
	v_addc_co_u32_e64 v18, s[0:1], v6, v18, s[0:1]
	v_mad_u64_u32 v[22:23], s[0:1], s3, v23, v[22:23]
	v_mad_u64_u32 v[23:24], s[0:1], s2, v25, 0
	v_lshlrev_b64 v[19:20], 3, v[19:20]
	v_lshlrev_b64 v[21:22], 3, v[21:22]
	v_add_co_u32_e64 v19, s[0:1], v5, v19
	v_addc_co_u32_e64 v20, s[0:1], v6, v20, s[0:1]
	v_mad_u64_u32 v[24:25], s[0:1], s3, v25, v[24:25]
	v_mad_u64_u32 v[25:26], s[0:1], s2, v75, 0
	v_add_co_u32_e64 v21, s[0:1], v5, v21
	v_addc_co_u32_e64 v22, s[0:1], v6, v22, s[0:1]
	v_mad_u64_u32 v[26:27], s[0:1], s3, v75, v[26:27]
	v_mad_u64_u32 v[27:28], s[0:1], s2, v71, 0
	v_lshlrev_b64 v[23:24], 3, v[23:24]
	v_or_b32_e32 v84, 0x50, v66
	v_add_co_u32_e64 v29, s[0:1], v5, v23
	v_addc_co_u32_e64 v30, s[0:1], v6, v24, s[0:1]
	v_lshlrev_b64 v[23:24], 3, v[25:26]
	v_mov_b32_e32 v25, v28
	v_mad_u64_u32 v[25:26], s[0:1], s3, v71, v[25:26]
	v_mad_u64_u32 v[31:32], s[0:1], s2, v68, 0
	v_add_co_u32_e64 v33, s[0:1], v5, v23
	v_mov_b32_e32 v28, v25
	v_mov_b32_e32 v25, v32
	v_addc_co_u32_e64 v34, s[0:1], v6, v24, s[0:1]
	v_mad_u64_u32 v[25:26], s[0:1], s3, v68, v[25:26]
	v_lshlrev_b64 v[23:24], 3, v[27:28]
	v_mad_u64_u32 v[26:27], s[0:1], s2, v76, 0
	v_add_co_u32_e64 v49, s[0:1], v5, v23
	v_mov_b32_e32 v32, v25
	v_mov_b32_e32 v25, v27
	v_addc_co_u32_e64 v50, s[0:1], v6, v24, s[0:1]
	v_mad_u64_u32 v[27:28], s[0:1], s3, v76, v[25:26]
	v_add_u32_e32 v28, 0x41, v66
	v_lshlrev_b64 v[23:24], 3, v[31:32]
	v_mad_u64_u32 v[31:32], s[0:1], s2, v28, 0
	v_add_co_u32_e64 v51, s[0:1], v5, v23
	v_mov_b32_e32 v25, v32
	v_addc_co_u32_e64 v52, s[0:1], v6, v24, s[0:1]
	v_lshlrev_b64 v[23:24], 3, v[26:27]
	v_mad_u64_u32 v[25:26], s[0:1], s3, v28, v[25:26]
	v_mad_u64_u32 v[26:27], s[0:1], s2, v84, 0
	v_add_co_u32_e64 v78, s[0:1], v5, v23
	v_mov_b32_e32 v32, v25
	v_mov_b32_e32 v25, v27
	v_addc_co_u32_e64 v79, s[0:1], v6, v24, s[0:1]
	v_mad_u64_u32 v[27:28], s[0:1], s3, v84, v[25:26]
	v_add_u32_e32 v28, 0x5f, v66
	v_lshlrev_b64 v[23:24], 3, v[31:32]
	v_mad_u64_u32 v[31:32], s[0:1], s2, v28, 0
	v_add_co_u32_e64 v80, s[0:1], v5, v23
	v_mov_b32_e32 v25, v32
	v_addc_co_u32_e64 v81, s[0:1], v6, v24, s[0:1]
	v_lshlrev_b64 v[23:24], 3, v[26:27]
	v_mad_u64_u32 v[25:26], s[0:1], s3, v28, v[25:26]
	v_add_u32_e32 v28, 0x6e, v66
	v_mad_u64_u32 v[26:27], s[0:1], s2, v28, 0
	v_add_co_u32_e64 v82, s[0:1], v5, v23
	v_mov_b32_e32 v32, v25
	v_mov_b32_e32 v25, v27
	v_addc_co_u32_e64 v83, s[0:1], v6, v24, s[0:1]
	v_mad_u64_u32 v[27:28], s[0:1], s3, v28, v[25:26]
	v_add_u32_e32 v28, 0x7d, v66
	v_lshlrev_b64 v[23:24], 3, v[31:32]
	v_mad_u64_u32 v[31:32], s[0:1], s2, v28, 0
	v_add_co_u32_e64 v85, s[0:1], v5, v23
	v_mov_b32_e32 v25, v32
	v_addc_co_u32_e64 v86, s[0:1], v6, v24, s[0:1]
	v_lshlrev_b64 v[23:24], 3, v[26:27]
	v_mad_u64_u32 v[25:26], s[0:1], s3, v28, v[25:26]
	v_add_u32_e32 v28, 0x8c, v66
	v_mad_u64_u32 v[26:27], s[0:1], s2, v28, 0
	v_add_co_u32_e64 v87, s[0:1], v5, v23
	v_mov_b32_e32 v32, v25
	v_addc_co_u32_e64 v88, s[0:1], v6, v24, s[0:1]
	v_lshlrev_b64 v[23:24], 3, v[31:32]
	v_mov_b32_e32 v25, v27
	v_mad_u64_u32 v[31:32], s[0:1], s2, v73, 0
	v_mad_u64_u32 v[27:28], s[0:1], s3, v28, v[25:26]
	v_add_co_u32_e64 v89, s[0:1], v5, v23
	v_mov_b32_e32 v25, v32
	v_addc_co_u32_e64 v90, s[0:1], v6, v24, s[0:1]
	v_lshlrev_b64 v[23:24], 3, v[26:27]
	v_mad_u64_u32 v[25:26], s[0:1], s3, v73, v[25:26]
	v_mad_u64_u32 v[26:27], s[0:1], s2, v70, 0
	v_add_co_u32_e64 v91, s[0:1], v5, v23
	v_mov_b32_e32 v32, v25
	v_addc_co_u32_e64 v92, s[0:1], v6, v24, s[0:1]
	v_lshlrev_b64 v[23:24], 3, v[31:32]
	v_mov_b32_e32 v25, v27
	v_mad_u64_u32 v[31:32], s[0:1], s2, v67, 0
	v_mad_u64_u32 v[27:28], s[0:1], s3, v70, v[25:26]
	v_add_co_u32_e64 v93, s[0:1], v5, v23
	v_mov_b32_e32 v25, v32
	v_addc_co_u32_e64 v94, s[0:1], v6, v24, s[0:1]
	v_lshlrev_b64 v[23:24], 3, v[26:27]
	v_mad_u64_u32 v[25:26], s[0:1], s3, v67, v[25:26]
	v_mad_u64_u32 v[26:27], s[0:1], s2, v77, 0
	v_add_co_u32_e64 v95, s[0:1], v5, v23
	v_mov_b32_e32 v32, v25
	v_mov_b32_e32 v25, v27
	v_addc_co_u32_e64 v96, s[0:1], v6, v24, s[0:1]
	v_mad_u64_u32 v[27:28], s[0:1], s3, v77, v[25:26]
	v_add_u32_e32 v28, 0x46, v66
	v_lshlrev_b64 v[23:24], 3, v[31:32]
	v_mad_u64_u32 v[31:32], s[0:1], s2, v28, 0
	v_add_co_u32_e64 v97, s[0:1], v5, v23
	v_mov_b32_e32 v25, v32
	v_addc_co_u32_e64 v98, s[0:1], v6, v24, s[0:1]
	v_lshlrev_b64 v[23:24], 3, v[26:27]
	v_mad_u64_u32 v[25:26], s[0:1], s3, v28, v[25:26]
	v_add_u32_e32 v28, 0x55, v66
	v_mad_u64_u32 v[26:27], s[0:1], s2, v28, 0
	v_add_co_u32_e64 v99, s[0:1], v5, v23
	v_mov_b32_e32 v32, v25
	v_mov_b32_e32 v25, v27
	v_addc_co_u32_e64 v100, s[0:1], v6, v24, s[0:1]
	v_mad_u64_u32 v[27:28], s[0:1], s3, v28, v[25:26]
	v_add_u32_e32 v28, 0x64, v66
	v_lshlrev_b64 v[23:24], 3, v[31:32]
	v_mad_u64_u32 v[31:32], s[0:1], s2, v28, 0
	v_add_co_u32_e64 v101, s[0:1], v5, v23
	v_mov_b32_e32 v25, v32
	v_addc_co_u32_e64 v102, s[0:1], v6, v24, s[0:1]
	v_lshlrev_b64 v[23:24], 3, v[26:27]
	v_mad_u64_u32 v[25:26], s[0:1], s3, v28, v[25:26]
	v_add_u32_e32 v28, 0x73, v66
	;; [unrolled: 15-line block ×3, first 2 shown]
	v_mad_u64_u32 v[26:27], s[0:1], s2, v28, 0
	v_add_co_u32_e64 v107, s[0:1], v5, v23
	v_mov_b32_e32 v32, v25
	v_mov_b32_e32 v25, v27
	v_addc_co_u32_e64 v108, s[0:1], v6, v24, s[0:1]
	v_mad_u64_u32 v[27:28], s[0:1], s3, v28, v[25:26]
	v_lshlrev_b64 v[23:24], 3, v[31:32]
	v_add_co_u32_e64 v109, s[0:1], v5, v23
	v_addc_co_u32_e64 v110, s[0:1], v6, v24, s[0:1]
	v_lshlrev_b64 v[23:24], 3, v[26:27]
	v_add_co_u32_e64 v111, s[0:1], v5, v23
	v_addc_co_u32_e64 v112, s[0:1], v6, v24, s[0:1]
	global_load_dwordx2 v[40:41], v[3:4], off
	global_load_dwordx2 v[38:39], v[7:8], off
	;; [unrolled: 1-line block ×15, first 2 shown]
                                        ; kill: killed $vgpr29 killed $vgpr30
                                        ; kill: killed $vgpr13 killed $vgpr14
                                        ; kill: killed $vgpr7 killed $vgpr8
                                        ; kill: killed $vgpr78 killed $vgpr79
                                        ; kill: killed $vgpr33 killed $vgpr34
                                        ; kill: killed $vgpr17 killed $vgpr18
                                        ; kill: killed $vgpr9 killed $vgpr10
                                        ; kill: killed $vgpr49 killed $vgpr50
                                        ; kill: killed $vgpr21 killed $vgpr22
                                        ; kill: killed $vgpr11 killed $vgpr12
                                        ; kill: killed $vgpr51 killed $vgpr52
                                        ; kill: killed $vgpr15 killed $vgpr16
                                        ; kill: killed $vgpr80 killed $vgpr81
                                        ; kill: killed $vgpr19 killed $vgpr20
                                        ; kill: killed $vgpr3 killed $vgpr4
	s_nop 0
	global_load_dwordx2 v[33:34], v[82:83], off
	global_load_dwordx2 v[49:50], v[85:86], off
	;; [unrolled: 1-line block ×15, first 2 shown]
	v_mov_b32_e32 v83, v70
	v_mov_b32_e32 v81, v71
	;; [unrolled: 1-line block ×9, first 2 shown]
.LBB0_12:
	s_or_b64 exec, exec, s[4:5]
	s_mov_b32 s0, 0xaaaaaaab
	v_mul_hi_u32 v37, v2, s0
	s_waitcnt vmcnt(23)
	v_sub_f32_e32 v90, v64, v58
	v_sub_f32_e32 v91, v61, v63
	s_waitcnt vmcnt(21)
	v_sub_f32_e32 v92, v59, v57
	v_lshrrev_b32_e32 v37, 3, v37
	v_mul_lo_u32 v37, v37, 12
	v_add_f32_e32 v91, v92, v91
	v_sub_f32_e32 v92, v63, v61
	v_sub_f32_e32 v93, v57, v59
	v_sub_u32_e32 v2, v2, v37
	v_add_f32_e32 v37, v61, v40
	v_add_f32_e32 v37, v63, v37
	;; [unrolled: 1-line block ×5, first 2 shown]
	v_fma_f32 v88, -0.5, v37, v40
	v_sub_f32_e32 v37, v62, v60
	v_mov_b32_e32 v89, v88
	v_fmac_f32_e32 v89, 0x3f737871, v37
	v_fmac_f32_e32 v88, 0xbf737871, v37
	v_fmac_f32_e32 v89, 0x3f167918, v90
	v_fmac_f32_e32 v88, 0xbf167918, v90
	v_fmac_f32_e32 v89, 0x3e9e377a, v91
	v_fmac_f32_e32 v88, 0x3e9e377a, v91
	v_add_f32_e32 v91, v59, v61
	v_fmac_f32_e32 v40, -0.5, v91
	v_mov_b32_e32 v91, v40
	v_fmac_f32_e32 v91, 0xbf737871, v90
	v_fmac_f32_e32 v40, 0x3f737871, v90
	;; [unrolled: 1-line block ×4, first 2 shown]
	v_add_f32_e32 v37, v62, v41
	v_add_f32_e32 v37, v64, v37
	;; [unrolled: 1-line block ×6, first 2 shown]
	v_fmac_f32_e32 v91, 0x3e9e377a, v92
	v_fmac_f32_e32 v40, 0x3e9e377a, v92
	v_fma_f32 v92, -0.5, v37, v41
	v_sub_f32_e32 v37, v61, v59
	v_mov_b32_e32 v93, v92
	v_fmac_f32_e32 v93, 0xbf737871, v37
	v_sub_f32_e32 v57, v63, v57
	v_sub_f32_e32 v59, v62, v64
	;; [unrolled: 1-line block ×3, first 2 shown]
	v_fmac_f32_e32 v92, 0x3f737871, v37
	v_fmac_f32_e32 v93, 0xbf167918, v57
	v_add_f32_e32 v59, v61, v59
	v_fmac_f32_e32 v92, 0x3f167918, v57
	v_fmac_f32_e32 v93, 0x3e9e377a, v59
	;; [unrolled: 1-line block ×3, first 2 shown]
	v_add_f32_e32 v59, v60, v62
	v_fmac_f32_e32 v41, -0.5, v59
	v_mov_b32_e32 v63, v41
	v_fmac_f32_e32 v63, 0x3f737871, v57
	v_fmac_f32_e32 v41, 0xbf737871, v57
	;; [unrolled: 1-line block ×4, first 2 shown]
	v_add_f32_e32 v37, v53, v38
	v_sub_f32_e32 v59, v64, v62
	v_sub_f32_e32 v58, v58, v60
	v_add_f32_e32 v37, v55, v37
	v_add_f32_e32 v58, v58, v59
	v_add_f32_e32 v37, v35, v37
	v_fmac_f32_e32 v63, 0x3e9e377a, v58
	v_fmac_f32_e32 v41, 0x3e9e377a, v58
	s_waitcnt vmcnt(20)
	v_add_f32_e32 v58, v42, v37
	v_add_f32_e32 v37, v35, v55
	v_fma_f32 v59, -0.5, v37, v38
	v_sub_f32_e32 v37, v54, v43
	v_mov_b32_e32 v60, v59
	v_fmac_f32_e32 v60, 0x3f737871, v37
	v_sub_f32_e32 v57, v56, v36
	v_sub_f32_e32 v61, v53, v55
	;; [unrolled: 1-line block ×3, first 2 shown]
	v_fmac_f32_e32 v59, 0xbf737871, v37
	v_fmac_f32_e32 v60, 0x3f167918, v57
	v_add_f32_e32 v61, v62, v61
	v_fmac_f32_e32 v59, 0xbf167918, v57
	v_fmac_f32_e32 v60, 0x3e9e377a, v61
	;; [unrolled: 1-line block ×3, first 2 shown]
	v_add_f32_e32 v61, v42, v53
	v_fmac_f32_e32 v38, -0.5, v61
	v_mov_b32_e32 v61, v38
	v_fmac_f32_e32 v61, 0xbf737871, v57
	v_fmac_f32_e32 v38, 0x3f737871, v57
	;; [unrolled: 1-line block ×4, first 2 shown]
	v_add_f32_e32 v37, v54, v39
	v_add_f32_e32 v37, v56, v37
	v_sub_f32_e32 v62, v55, v53
	v_sub_f32_e32 v64, v35, v42
	v_add_f32_e32 v37, v36, v37
	v_add_f32_e32 v62, v64, v62
	;; [unrolled: 1-line block ×4, first 2 shown]
	v_fmac_f32_e32 v61, 0x3e9e377a, v62
	v_fmac_f32_e32 v38, 0x3e9e377a, v62
	v_fma_f32 v62, -0.5, v37, v39
	v_sub_f32_e32 v37, v53, v42
	v_mov_b32_e32 v42, v62
	v_fmac_f32_e32 v42, 0xbf737871, v37
	v_sub_f32_e32 v35, v55, v35
	v_sub_f32_e32 v53, v54, v56
	;; [unrolled: 1-line block ×3, first 2 shown]
	v_fmac_f32_e32 v62, 0x3f737871, v37
	v_fmac_f32_e32 v42, 0xbf167918, v35
	v_add_f32_e32 v53, v55, v53
	v_fmac_f32_e32 v62, 0x3f167918, v35
	v_fmac_f32_e32 v42, 0x3e9e377a, v53
	;; [unrolled: 1-line block ×3, first 2 shown]
	v_add_f32_e32 v53, v43, v54
	v_fmac_f32_e32 v39, -0.5, v53
	v_mov_b32_e32 v94, v39
	v_fmac_f32_e32 v94, 0x3f737871, v35
	v_sub_f32_e32 v53, v56, v54
	v_sub_f32_e32 v36, v36, v43
	v_fmac_f32_e32 v94, 0xbf167918, v37
	v_add_f32_e32 v36, v36, v53
	v_mul_f32_e32 v43, 0x3f4f1bbd, v60
	v_mul_f32_e32 v98, 0xbf167918, v60
	v_fmac_f32_e32 v94, 0x3e9e377a, v36
	v_fmac_f32_e32 v43, 0x3f167918, v42
	;; [unrolled: 1-line block ×3, first 2 shown]
	v_mul_f32_e32 v42, 0xbf737871, v61
	v_fmac_f32_e32 v39, 0xbf737871, v35
	v_fmac_f32_e32 v42, 0x3e9e377a, v94
	;; [unrolled: 1-line block ×3, first 2 shown]
	v_add_f32_e32 v53, v58, v44
	v_add_f32_e32 v37, v63, v42
	v_sub_f32_e32 v58, v44, v58
	v_sub_f32_e32 v44, v63, v42
	s_waitcnt vmcnt(17)
	v_add_f32_e32 v63, v45, v23
	s_mov_b32 s4, 0x3f737871
	v_fmac_f32_e32 v39, 0x3e9e377a, v36
	v_mul_f32_e32 v35, 0x3e9e377a, v38
	s_waitcnt vmcnt(15)
	v_add_f32_e32 v63, v47, v63
	s_mov_b32 s5, 0x3f167918
	v_fma_f32 v96, v39, s4, -v35
	v_mul_f32_e32 v35, 0x3f4f1bbd, v59
	s_waitcnt vmcnt(13)
	v_add_f32_e32 v63, v49, v63
	s_mov_b32 s0, 0xbf737871
	v_mul_f32_e32 v95, 0x3e9e377a, v61
	v_add_f32_e32 v56, v40, v96
	v_fma_f32 v97, v62, s5, -v35
	v_add_f32_e32 v35, v64, v90
	v_mul_f32_e32 v39, 0x3e9e377a, v39
	v_sub_f32_e32 v61, v40, v96
	v_sub_f32_e32 v40, v90, v64
	s_waitcnt vmcnt(11)
	v_add_f32_e32 v64, v51, v63
	v_add_f32_e32 v63, v49, v47
	s_mov_b32 s1, 0xbf167918
	v_fmac_f32_e32 v95, 0x3f737871, v94
	v_add_f32_e32 v57, v88, v97
	v_fma_f32 v94, v38, s0, -v39
	v_mul_f32_e32 v39, 0x3f4f1bbd, v62
	v_sub_f32_e32 v62, v88, v97
	v_fma_f32 v88, -0.5, v63, v23
	v_add_f32_e32 v54, v89, v43
	v_fma_f32 v99, v59, s1, -v39
	v_sub_f32_e32 v59, v89, v43
	v_sub_f32_e32 v63, v46, v52
	v_mov_b32_e32 v89, v88
	v_add_f32_e32 v55, v91, v95
	v_add_f32_e32 v39, v92, v99
	v_sub_f32_e32 v60, v91, v95
	v_sub_f32_e32 v42, v92, v99
	v_fmac_f32_e32 v89, 0x3f737871, v63
	v_sub_f32_e32 v90, v48, v50
	v_sub_f32_e32 v91, v45, v47
	v_sub_f32_e32 v92, v51, v49
	v_fmac_f32_e32 v88, 0xbf737871, v63
	v_fmac_f32_e32 v89, 0x3f167918, v90
	v_add_f32_e32 v91, v92, v91
	v_fmac_f32_e32 v88, 0xbf167918, v90
	v_fmac_f32_e32 v89, 0x3e9e377a, v91
	;; [unrolled: 1-line block ×3, first 2 shown]
	v_add_f32_e32 v91, v51, v45
	v_fmac_f32_e32 v23, -0.5, v91
	v_mov_b32_e32 v91, v23
	v_fmac_f32_e32 v91, 0xbf737871, v90
	v_fmac_f32_e32 v23, 0x3f737871, v90
	;; [unrolled: 1-line block ×4, first 2 shown]
	v_add_f32_e32 v63, v46, v24
	v_add_f32_e32 v63, v48, v63
	v_add_f32_e32 v36, v93, v98
	v_sub_f32_e32 v43, v93, v98
	v_sub_f32_e32 v92, v47, v45
	;; [unrolled: 1-line block ×3, first 2 shown]
	v_add_f32_e32 v63, v50, v63
	v_add_f32_e32 v92, v93, v92
	;; [unrolled: 1-line block ×4, first 2 shown]
	v_fmac_f32_e32 v91, 0x3e9e377a, v92
	v_fmac_f32_e32 v23, 0x3e9e377a, v92
	v_fma_f32 v92, -0.5, v63, v24
	v_sub_f32_e32 v45, v45, v51
	v_mov_b32_e32 v93, v92
	v_fmac_f32_e32 v93, 0xbf737871, v45
	v_sub_f32_e32 v47, v47, v49
	v_sub_f32_e32 v49, v46, v48
	;; [unrolled: 1-line block ×3, first 2 shown]
	v_fmac_f32_e32 v92, 0x3f737871, v45
	v_fmac_f32_e32 v93, 0xbf167918, v47
	v_add_f32_e32 v49, v51, v49
	v_fmac_f32_e32 v92, 0x3f167918, v47
	v_fmac_f32_e32 v93, 0x3e9e377a, v49
	;; [unrolled: 1-line block ×3, first 2 shown]
	v_add_f32_e32 v49, v52, v46
	v_fmac_f32_e32 v24, -0.5, v49
	v_mov_b32_e32 v49, v24
	v_fmac_f32_e32 v49, 0x3f737871, v47
	v_sub_f32_e32 v46, v48, v46
	v_sub_f32_e32 v48, v50, v52
	v_fmac_f32_e32 v24, 0xbf737871, v47
	v_fmac_f32_e32 v49, 0xbf167918, v45
	v_add_f32_e32 v46, v48, v46
	v_fmac_f32_e32 v24, 0x3f167918, v45
	v_fmac_f32_e32 v49, 0x3e9e377a, v46
	;; [unrolled: 1-line block ×3, first 2 shown]
	v_add_f32_e32 v46, v29, v33
	v_fma_f32 v46, -0.5, v46, v25
	s_waitcnt vmcnt(10)
	v_sub_f32_e32 v47, v28, v32
	v_mov_b32_e32 v48, v46
	v_fmac_f32_e32 v48, 0x3f737871, v47
	v_sub_f32_e32 v50, v34, v30
	v_sub_f32_e32 v51, v27, v33
	;; [unrolled: 1-line block ×3, first 2 shown]
	v_fmac_f32_e32 v46, 0xbf737871, v47
	v_fmac_f32_e32 v48, 0x3f167918, v50
	v_add_f32_e32 v51, v52, v51
	v_fmac_f32_e32 v46, 0xbf167918, v50
	v_fmac_f32_e32 v48, 0x3e9e377a, v51
	;; [unrolled: 1-line block ×3, first 2 shown]
	v_add_f32_e32 v51, v31, v27
	v_add_f32_e32 v45, v27, v25
	v_fmac_f32_e32 v25, -0.5, v51
	v_mov_b32_e32 v51, v25
	v_fmac_f32_e32 v51, 0xbf737871, v50
	v_sub_f32_e32 v52, v33, v27
	v_sub_f32_e32 v63, v29, v31
	v_fmac_f32_e32 v25, 0x3f737871, v50
	v_fmac_f32_e32 v51, 0x3f167918, v47
	v_add_f32_e32 v52, v63, v52
	v_fmac_f32_e32 v25, 0xbf167918, v47
	v_add_f32_e32 v50, v30, v34
	v_add_f32_e32 v45, v33, v45
	v_fmac_f32_e32 v51, 0x3e9e377a, v52
	v_fmac_f32_e32 v25, 0x3e9e377a, v52
	v_fma_f32 v52, -0.5, v50, v26
	v_add_f32_e32 v45, v29, v45
	v_sub_f32_e32 v27, v27, v31
	v_mov_b32_e32 v50, v52
	v_add_f32_e32 v45, v31, v45
	v_fmac_f32_e32 v50, 0xbf737871, v27
	v_sub_f32_e32 v29, v33, v29
	v_sub_f32_e32 v31, v28, v34
	;; [unrolled: 1-line block ×3, first 2 shown]
	v_fmac_f32_e32 v52, 0x3f737871, v27
	v_fmac_f32_e32 v50, 0xbf167918, v29
	v_add_f32_e32 v31, v33, v31
	v_fmac_f32_e32 v52, 0x3f167918, v29
	v_add_f32_e32 v47, v28, v26
	v_fmac_f32_e32 v50, 0x3e9e377a, v31
	v_fmac_f32_e32 v52, 0x3e9e377a, v31
	v_add_f32_e32 v31, v32, v28
	v_add_f32_e32 v47, v34, v47
	v_fmac_f32_e32 v26, -0.5, v31
	v_add_f32_e32 v47, v30, v47
	v_mov_b32_e32 v63, v26
	v_sub_f32_e32 v28, v34, v28
	v_sub_f32_e32 v30, v30, v32
	v_fmac_f32_e32 v26, 0xbf737871, v29
	v_add_f32_e32 v28, v30, v28
	v_fmac_f32_e32 v26, 0x3f167918, v27
	v_fmac_f32_e32 v26, 0x3e9e377a, v28
	v_mul_f32_e32 v30, 0x3e9e377a, v25
	v_fma_f32 v96, v26, s4, -v30
	v_mul_f32_e32 v26, 0x3e9e377a, v26
	v_add_f32_e32 v47, v32, v47
	v_fmac_f32_e32 v63, 0x3f737871, v29
	v_fma_f32 v99, v25, s0, -v26
	v_add_f32_e32 v38, v41, v94
	v_sub_f32_e32 v41, v41, v94
	v_fmac_f32_e32 v63, 0xbf167918, v27
	v_add_f32_e32 v27, v45, v64
	v_mul_f32_e32 v94, 0x3f4f1bbd, v48
	v_mul_f32_e32 v95, 0x3e9e377a, v51
	;; [unrolled: 1-line block ×3, first 2 shown]
	v_add_f32_e32 v33, v47, v90
	v_mul_f32_e32 v48, 0xbf167918, v48
	v_mul_f32_e32 v98, 0xbf737871, v51
	v_add_f32_e32 v51, v24, v99
	v_sub_f32_e32 v32, v64, v45
	v_sub_f32_e32 v64, v90, v47
	;; [unrolled: 1-line block ×3, first 2 shown]
	s_waitcnt vmcnt(3)
	v_add_f32_e32 v24, v15, v21
	v_fmac_f32_e32 v63, 0x3e9e377a, v28
	v_fma_f32 v97, v52, s5, -v31
	v_fmac_f32_e32 v48, 0x3f4f1bbd, v50
	v_mul_f32_e32 v25, 0x3f4f1bbd, v52
	v_fma_f32 v24, -0.5, v24, v3
	v_fmac_f32_e32 v94, 0x3f167918, v50
	v_fmac_f32_e32 v95, 0x3f737871, v63
	v_add_f32_e32 v31, v88, v97
	v_add_f32_e32 v34, v93, v48
	v_fmac_f32_e32 v98, 0x3e9e377a, v63
	v_fma_f32 v52, v46, s1, -v25
	v_sub_f32_e32 v46, v88, v97
	v_sub_f32_e32 v88, v93, v48
	s_waitcnt vmcnt(1)
	v_sub_f32_e32 v47, v20, v18
	v_mov_b32_e32 v48, v24
	v_add_f32_e32 v28, v89, v94
	v_add_f32_e32 v29, v91, v95
	;; [unrolled: 1-line block ×4, first 2 shown]
	v_sub_f32_e32 v25, v89, v94
	v_sub_f32_e32 v26, v91, v95
	;; [unrolled: 1-line block ×4, first 2 shown]
	v_fmac_f32_e32 v48, 0x3f737871, v47
	v_sub_f32_e32 v49, v22, v16
	v_sub_f32_e32 v52, v19, v21
	;; [unrolled: 1-line block ×3, first 2 shown]
	v_fmac_f32_e32 v24, 0xbf737871, v47
	v_fmac_f32_e32 v48, 0x3f167918, v49
	v_add_f32_e32 v52, v92, v52
	v_fmac_f32_e32 v24, 0xbf167918, v49
	v_fmac_f32_e32 v48, 0x3e9e377a, v52
	v_fmac_f32_e32 v24, 0x3e9e377a, v52
	v_add_f32_e32 v52, v17, v19
	v_add_f32_e32 v30, v23, v96
	v_sub_f32_e32 v45, v23, v96
	v_add_f32_e32 v23, v19, v3
	v_fmac_f32_e32 v3, -0.5, v52
	v_mov_b32_e32 v52, v3
	v_add_f32_e32 v23, v21, v23
	v_fmac_f32_e32 v52, 0xbf737871, v49
	v_sub_f32_e32 v92, v21, v19
	v_sub_f32_e32 v93, v15, v17
	v_fmac_f32_e32 v3, 0x3f737871, v49
	v_add_f32_e32 v49, v16, v22
	v_add_f32_e32 v23, v15, v23
	v_fmac_f32_e32 v52, 0x3f167918, v47
	v_add_f32_e32 v92, v93, v92
	v_fmac_f32_e32 v3, 0xbf167918, v47
	v_fma_f32 v49, -0.5, v49, v4
	v_add_f32_e32 v23, v17, v23
	v_fmac_f32_e32 v52, 0x3e9e377a, v92
	v_fmac_f32_e32 v3, 0x3e9e377a, v92
	v_sub_f32_e32 v17, v19, v17
	v_mov_b32_e32 v92, v49
	v_fmac_f32_e32 v92, 0xbf737871, v17
	v_sub_f32_e32 v15, v21, v15
	v_sub_f32_e32 v19, v20, v22
	;; [unrolled: 1-line block ×3, first 2 shown]
	v_fmac_f32_e32 v49, 0x3f737871, v17
	v_fmac_f32_e32 v92, 0xbf167918, v15
	v_add_f32_e32 v19, v21, v19
	v_fmac_f32_e32 v49, 0x3f167918, v15
	v_fmac_f32_e32 v92, 0x3e9e377a, v19
	;; [unrolled: 1-line block ×3, first 2 shown]
	v_add_f32_e32 v19, v18, v20
	v_add_f32_e32 v47, v20, v4
	v_fmac_f32_e32 v4, -0.5, v19
	v_mov_b32_e32 v21, v4
	v_fmac_f32_e32 v21, 0x3f737871, v15
	v_fmac_f32_e32 v4, 0xbf737871, v15
	v_add_f32_e32 v15, v9, v5
	v_add_f32_e32 v47, v22, v47
	v_add_f32_e32 v15, v11, v15
	v_add_f32_e32 v47, v16, v47
	v_add_f32_e32 v15, v7, v15
	v_add_f32_e32 v47, v18, v47
	v_sub_f32_e32 v19, v22, v20
	v_sub_f32_e32 v16, v16, v18
	s_waitcnt vmcnt(0)
	v_add_f32_e32 v18, v13, v15
	v_add_f32_e32 v15, v7, v11
	v_fmac_f32_e32 v21, 0xbf167918, v17
	v_add_f32_e32 v16, v16, v19
	v_fmac_f32_e32 v4, 0x3f167918, v17
	v_fma_f32 v17, -0.5, v15, v5
	v_fmac_f32_e32 v21, 0x3e9e377a, v16
	v_fmac_f32_e32 v4, 0x3e9e377a, v16
	v_sub_f32_e32 v15, v10, v14
	v_mov_b32_e32 v16, v17
	v_fmac_f32_e32 v16, 0x3f737871, v15
	v_sub_f32_e32 v19, v12, v8
	v_sub_f32_e32 v20, v9, v11
	;; [unrolled: 1-line block ×3, first 2 shown]
	v_fmac_f32_e32 v17, 0xbf737871, v15
	v_fmac_f32_e32 v16, 0x3f167918, v19
	v_add_f32_e32 v20, v22, v20
	v_fmac_f32_e32 v17, 0xbf167918, v19
	v_fmac_f32_e32 v16, 0x3e9e377a, v20
	;; [unrolled: 1-line block ×3, first 2 shown]
	v_add_f32_e32 v20, v13, v9
	v_fmac_f32_e32 v5, -0.5, v20
	v_mov_b32_e32 v20, v5
	v_fmac_f32_e32 v20, 0xbf737871, v19
	v_fmac_f32_e32 v5, 0x3f737871, v19
	;; [unrolled: 1-line block ×4, first 2 shown]
	v_add_f32_e32 v15, v10, v6
	v_sub_f32_e32 v22, v11, v9
	v_sub_f32_e32 v93, v7, v13
	v_add_f32_e32 v15, v12, v15
	v_add_f32_e32 v22, v93, v22
	;; [unrolled: 1-line block ×3, first 2 shown]
	v_fmac_f32_e32 v20, 0x3e9e377a, v22
	v_fmac_f32_e32 v5, 0x3e9e377a, v22
	v_add_f32_e32 v22, v14, v15
	v_add_f32_e32 v15, v8, v12
	v_fma_f32 v19, -0.5, v15, v6
	v_sub_f32_e32 v9, v9, v13
	v_mov_b32_e32 v15, v19
	v_fmac_f32_e32 v15, 0xbf737871, v9
	v_sub_f32_e32 v7, v11, v7
	v_sub_f32_e32 v11, v10, v12
	;; [unrolled: 1-line block ×3, first 2 shown]
	v_fmac_f32_e32 v19, 0x3f737871, v9
	v_fmac_f32_e32 v15, 0xbf167918, v7
	v_add_f32_e32 v11, v13, v11
	v_fmac_f32_e32 v19, 0x3f167918, v7
	v_fmac_f32_e32 v15, 0x3e9e377a, v11
	;; [unrolled: 1-line block ×3, first 2 shown]
	v_add_f32_e32 v11, v14, v10
	v_fmac_f32_e32 v6, -0.5, v11
	v_mov_b32_e32 v93, v6
	v_sub_f32_e32 v10, v12, v10
	v_sub_f32_e32 v8, v8, v14
	v_fmac_f32_e32 v6, 0xbf737871, v7
	v_add_f32_e32 v8, v8, v10
	v_fmac_f32_e32 v6, 0x3f167918, v9
	v_fmac_f32_e32 v6, 0x3e9e377a, v8
	v_mul_f32_e32 v10, 0x3e9e377a, v5
	v_fmac_f32_e32 v93, 0x3f737871, v7
	v_mul_f32_e32 v94, 0x3f4f1bbd, v16
	v_fma_f32 v96, v6, s4, -v10
	v_mul_f32_e32 v6, 0x3e9e377a, v6
	v_mul_u32_u24_e32 v2, 0x96, v2
	v_fmac_f32_e32 v93, 0xbf167918, v9
	v_fmac_f32_e32 v94, 0x3f167918, v15
	v_mul_f32_e32 v11, 0x3f4f1bbd, v17
	v_fma_f32 v100, v5, s0, -v6
	v_mul_f32_e32 v5, 0x3f4f1bbd, v19
	v_fmac_f32_e32 v93, 0x3e9e377a, v8
	v_add_f32_e32 v8, v48, v94
	v_mul_f32_e32 v95, 0x3e9e377a, v20
	v_fma_f32 v97, v19, s5, -v11
	v_mul_f32_e32 v98, 0xbf167918, v16
	v_add_f32_e32 v16, v4, v100
	v_fma_f32 v101, v17, s1, -v5
	v_sub_f32_e32 v5, v48, v94
	v_sub_f32_e32 v94, v4, v100
	v_lshlrev_b32_e32 v4, 2, v2
	v_fmac_f32_e32 v95, 0x3f737871, v93
	v_add_f32_e32 v10, v3, v96
	v_add_f32_e32 v11, v24, v97
	v_mul_f32_e32 v99, 0xbf737871, v20
	v_sub_f32_e32 v19, v3, v96
	v_sub_f32_e32 v20, v24, v97
	v_mul_u32_u24_e32 v3, 10, v66
	v_add_u32_e32 v24, 0, v4
	v_mul_i32_i24_e32 v2, 10, v78
	v_add_f32_e32 v9, v52, v95
	v_sub_f32_e32 v6, v52, v95
	v_lshl_add_u32 v3, v3, 2, v24
	v_lshl_add_u32 v52, v2, 2, v24
	v_mul_i32_i24_e32 v2, 10, v79
	v_add_f32_e32 v7, v18, v23
	v_fmac_f32_e32 v99, 0x3e9e377a, v93
	ds_write2_b64 v3, v[53:54], v[55:56] offset1:1
	ds_write2_b64 v3, v[57:58], v[59:60] offset0:2 offset1:3
	ds_write_b64 v3, v[61:62] offset:32
	v_lshl_add_u32 v53, v2, 2, v24
	v_lshlrev_b32_e32 v2, 2, v66
	v_lshlrev_b32_e32 v59, 2, v78
	v_add_f32_e32 v13, v22, v47
	v_fmac_f32_e32 v98, 0x3f4f1bbd, v15
	v_add_f32_e32 v15, v21, v99
	v_add_f32_e32 v17, v49, v101
	v_sub_f32_e32 v12, v23, v18
	v_sub_f32_e32 v18, v47, v22
	;; [unrolled: 1-line block ×4, first 2 shown]
	ds_write2_b64 v52, v[27:28], v[29:30] offset1:1
	ds_write2_b64 v52, v[31:32], v[25:26] offset0:2 offset1:3
	ds_write_b64 v52, v[45:46] offset:32
	ds_write2_b64 v53, v[7:8], v[9:10] offset1:1
	ds_write2_b64 v53, v[11:12], v[5:6] offset0:2 offset1:3
	ds_write_b64 v53, v[19:20] offset:32
	v_add_u32_e32 v46, v24, v2
	v_lshl_add_u32 v49, v82, 2, v24
	v_add3_u32 v45, 0, v2, v4
	v_add_u32_e32 v20, v24, v59
	v_lshl_add_u32 v21, v85, 2, v24
	v_lshl_add_u32 v22, v79, 2, v24
	;; [unrolled: 1-line block ×7, first 2 shown]
	v_add_f32_e32 v14, v92, v98
	v_sub_f32_e32 v92, v92, v98
	s_waitcnt lgkmcnt(0)
	; wave barrier
	s_waitcnt lgkmcnt(0)
	ds_read_b32 v25, v46
	ds_read_b32 v62, v49
	ds_read2_b32 v[55:56], v45 offset0:90 offset1:95
	ds_read2_b32 v[57:58], v45 offset0:120 offset1:125
	ds_read_b32 v26, v20
	ds_read_b32 v123, v21
	ds_read2_b32 v[4:5], v45 offset0:50 offset1:55
	ds_read2_b32 v[60:61], v45 offset0:60 offset1:65
	;; [unrolled: 4-line block ×3, first 2 shown]
	ds_read2_b32 v[113:114], v45 offset0:130 offset1:135
	ds_read_b32 v30, v28
	ds_read_b32 v125, v29
	;; [unrolled: 1-line block ×3, first 2 shown]
	ds_read2_b32 v[10:11], v45 offset0:80 offset1:85
	ds_read2_b32 v[8:9], v45 offset0:110 offset1:115
	;; [unrolled: 1-line block ×3, first 2 shown]
	ds_read_b32 v32, v48
	s_waitcnt lgkmcnt(0)
	; wave barrier
	s_waitcnt lgkmcnt(0)
	ds_write2_b64 v3, v[35:36], v[37:38] offset1:1
	ds_write2_b64 v3, v[39:40], v[43:44] offset0:2 offset1:3
	ds_write_b64 v3, v[41:42] offset:32
	ds_write2_b64 v52, v[33:34], v[50:51] offset1:1
	ds_write2_b64 v52, v[63:64], v[88:89] offset0:2 offset1:3
	ds_write_b64 v52, v[90:91] offset:32
	;; [unrolled: 3-line block ×3, first 2 shown]
	v_mov_b32_e32 v3, 0
	v_lshlrev_b64 v[33:34], 3, v[2:3]
	v_mov_b32_e32 v2, s9
	v_add_co_u32_e64 v88, s[0:1], s8, v33
	v_addc_co_u32_e64 v89, s[0:1], v2, v34, s[0:1]
	s_waitcnt lgkmcnt(0)
	; wave barrier
	s_waitcnt lgkmcnt(0)
	ds_read_b32 v38, v46
	ds_read_b32 v37, v49
	ds_read2_b32 v[95:96], v45 offset0:90 offset1:95
	ds_read2_b32 v[115:116], v45 offset0:120 offset1:125
	ds_read_b32 v39, v20
	ds_read_b32 v44, v21
	ds_read2_b32 v[14:15], v45 offset0:50 offset1:55
	ds_read2_b32 v[63:64], v45 offset0:60 offset1:65
	;; [unrolled: 4-line block ×3, first 2 shown]
	ds_read2_b32 v[121:122], v45 offset0:130 offset1:135
	ds_read_b32 v42, v28
	ds_read_b32 v126, v29
	;; [unrolled: 1-line block ×3, first 2 shown]
	ds_read2_b32 v[18:19], v45 offset0:80 offset1:85
	ds_read2_b32 v[16:17], v45 offset0:110 offset1:115
	ds_read2_b32 v[12:13], v45 offset0:140 offset1:145
	ds_read_b32 v43, v48
	global_load_dwordx4 v[33:36], v[88:89], off offset:16
	global_load_dwordx4 v[51:54], v[88:89], off
	s_waitcnt vmcnt(1)
	v_mul_f32_e32 v91, v55, v34
	s_waitcnt vmcnt(0)
	v_mul_f32_e32 v89, v62, v52
	s_waitcnt lgkmcnt(14)
	v_mul_f32_e32 v88, v37, v52
	v_fmac_f32_e32 v89, v37, v51
	s_waitcnt lgkmcnt(12)
	v_mul_f32_e32 v37, v63, v54
	v_fma_f32 v98, v60, v53, -v37
	v_mul_f32_e32 v90, v60, v54
	v_mov_b32_e32 v60, v3
	v_lshlrev_b64 v[59:60], 3, v[59:60]
	v_fmac_f32_e32 v90, v63, v53
	v_add_co_u32_e64 v59, s[0:1], s8, v59
	v_addc_co_u32_e64 v60, s[0:1], v2, v60, s[0:1]
	global_load_dwordx4 v[101:104], v[59:60], off offset:16
	global_load_dwordx4 v[105:108], v[59:60], off
	v_mul_f32_e32 v37, v95, v34
	v_fmac_f32_e32 v91, v95, v33
	v_fma_f32 v99, v55, v33, -v37
	v_mul_f32_e32 v37, v115, v36
	v_fma_f32 v100, v57, v35, -v37
	v_mul_f32_e32 v94, v57, v36
	v_fma_f32 v97, v62, v51, -v88
	s_movk_i32 s0, 0xcd
	v_mul_f32_e32 v55, v111, v34
	v_fmac_f32_e32 v94, v115, v35
	s_waitcnt lgkmcnt(8)
	v_fmac_f32_e32 v55, v119, v33
	s_waitcnt vmcnt(1)
	v_mul_f32_e32 v88, v58, v104
	s_waitcnt vmcnt(0)
	v_mul_f32_e32 v2, v44, v106
	v_fma_f32 v92, v123, v105, -v2
	v_mul_f32_e32 v2, v64, v108
	v_fma_f32 v93, v61, v107, -v2
	v_mul_f32_e32 v63, v61, v108
	v_mul_f32_e32 v2, v96, v102
	v_fmac_f32_e32 v63, v64, v107
	v_fma_f32 v95, v56, v101, -v2
	v_mul_f32_e32 v64, v56, v102
	v_mul_f32_e32 v2, v116, v104
	v_fmac_f32_e32 v64, v96, v101
	v_fma_f32 v96, v58, v103, -v2
	v_mul_f32_e32 v2, v50, v52
	v_fma_f32 v57, v124, v51, -v2
	v_mul_f32_e32 v2, v117, v54
	v_fma_f32 v58, v109, v53, -v2
	v_mul_f32_e32 v2, v119, v34
	v_fma_f32 v60, v111, v33, -v2
	s_waitcnt lgkmcnt(7)
	v_mul_f32_e32 v2, v121, v36
	v_fma_f32 v61, v113, v35, -v2
	s_waitcnt lgkmcnt(5)
	v_mul_f32_e32 v2, v126, v106
	v_mul_f32_e32 v62, v123, v106
	v_fma_f32 v37, v125, v105, -v2
	v_mul_f32_e32 v2, v118, v108
	v_fmac_f32_e32 v62, v44, v105
	v_mul_f32_e32 v52, v124, v52
	v_fma_f32 v44, v110, v107, -v2
	v_mul_f32_e32 v2, v120, v102
	v_fmac_f32_e32 v52, v50, v51
	v_fma_f32 v50, v112, v101, -v2
	v_mul_f32_e32 v2, v122, v104
	v_fma_f32 v51, v114, v103, -v2
	v_mul_lo_u16_sdwa v2, v81, s0 dst_sel:DWORD dst_unused:UNUSED_PAD src0_sel:BYTE_0 src1_sel:DWORD
	v_lshrrev_b16_e32 v2, 11, v2
	v_mul_lo_u16_e32 v2, 10, v2
	v_sub_u16_e32 v2, v81, v2
	v_mul_f32_e32 v54, v109, v54
	v_mul_f32_e32 v56, v113, v36
	v_and_b32_e32 v2, 0xff, v2
	v_fmac_f32_e32 v54, v117, v53
	v_fmac_f32_e32 v56, v121, v35
	v_mul_f32_e32 v33, v125, v106
	v_mul_f32_e32 v34, v110, v108
	;; [unrolled: 1-line block ×4, first 2 shown]
	v_lshlrev_b32_e32 v53, 5, v2
	v_fmac_f32_e32 v88, v116, v103
	v_fmac_f32_e32 v33, v126, v105
	;; [unrolled: 1-line block ×5, first 2 shown]
	global_load_dwordx4 v[101:104], v53, s[8:9] offset:16
	global_load_dwordx4 v[105:108], v53, s[8:9]
	v_lshl_add_u32 v2, v2, 2, v24
	s_waitcnt vmcnt(0)
	v_mul_f32_e32 v53, v14, v106
	v_fma_f32 v59, v4, v105, -v53
	v_mul_f32_e32 v53, v4, v106
	s_waitcnt lgkmcnt(3)
	v_mul_f32_e32 v4, v18, v108
	v_fmac_f32_e32 v53, v14, v105
	v_fma_f32 v14, v10, v107, -v4
	v_mul_f32_e32 v10, v10, v108
	s_waitcnt lgkmcnt(2)
	v_mul_f32_e32 v4, v16, v102
	v_fmac_f32_e32 v10, v18, v107
	;; [unrolled: 5-line block ×3, first 2 shown]
	v_fma_f32 v16, v6, v103, -v4
	v_mul_lo_u16_sdwa v4, v83, s0 dst_sel:DWORD dst_unused:UNUSED_PAD src0_sel:BYTE_0 src1_sel:DWORD
	v_lshrrev_b16_e32 v4, 11, v4
	v_mul_lo_u16_e32 v4, 10, v4
	v_sub_u16_e32 v4, v83, v4
	v_mul_f32_e32 v6, v6, v104
	v_and_b32_e32 v4, 0xff, v4
	v_fmac_f32_e32 v6, v12, v103
	v_lshlrev_b32_e32 v12, 5, v4
	global_load_dwordx4 v[101:104], v12, s[8:9] offset:16
	global_load_dwordx4 v[105:108], v12, s[8:9]
	s_waitcnt lgkmcnt(0)
	; wave barrier
	s_waitcnt vmcnt(0) lgkmcnt(0)
	v_mul_f32_e32 v12, v15, v106
	v_fma_f32 v109, v5, v105, -v12
	v_mul_f32_e32 v5, v5, v106
	v_mul_f32_e32 v12, v19, v108
	v_fmac_f32_e32 v5, v15, v105
	v_fma_f32 v15, v11, v107, -v12
	v_mul_f32_e32 v105, v11, v108
	v_mul_f32_e32 v11, v17, v102
	v_fmac_f32_e32 v105, v19, v107
	;; [unrolled: 4-line block ×3, first 2 shown]
	v_fma_f32 v17, v7, v103, -v9
	v_add_f32_e32 v9, v25, v97
	v_add_f32_e32 v9, v9, v98
	;; [unrolled: 1-line block ×3, first 2 shown]
	v_mul_f32_e32 v7, v7, v104
	v_add_f32_e32 v101, v9, v100
	v_add_f32_e32 v9, v98, v99
	v_fmac_f32_e32 v7, v13, v103
	v_fma_f32 v103, -0.5, v9, v25
	v_sub_f32_e32 v9, v89, v94
	v_mov_b32_e32 v104, v103
	v_fmac_f32_e32 v104, 0x3f737871, v9
	v_sub_f32_e32 v11, v90, v91
	v_sub_f32_e32 v12, v97, v98
	;; [unrolled: 1-line block ×3, first 2 shown]
	v_fmac_f32_e32 v103, 0xbf737871, v9
	v_fmac_f32_e32 v104, 0x3f167918, v11
	v_add_f32_e32 v12, v12, v13
	v_fmac_f32_e32 v103, 0xbf167918, v11
	v_fmac_f32_e32 v104, 0x3e9e377a, v12
	;; [unrolled: 1-line block ×3, first 2 shown]
	v_add_f32_e32 v12, v97, v100
	v_fmac_f32_e32 v25, -0.5, v12
	v_mov_b32_e32 v106, v25
	v_fmac_f32_e32 v106, 0xbf737871, v11
	v_sub_f32_e32 v12, v98, v97
	v_sub_f32_e32 v13, v99, v100
	v_fmac_f32_e32 v25, 0x3f737871, v11
	v_add_f32_e32 v11, v90, v91
	v_fmac_f32_e32 v106, 0x3f167918, v9
	v_add_f32_e32 v12, v12, v13
	v_fmac_f32_e32 v25, 0xbf167918, v9
	v_fma_f32 v11, -0.5, v11, v38
	v_fmac_f32_e32 v106, 0x3e9e377a, v12
	v_fmac_f32_e32 v25, 0x3e9e377a, v12
	v_sub_f32_e32 v97, v97, v100
	v_mov_b32_e32 v12, v11
	v_fmac_f32_e32 v12, 0xbf737871, v97
	v_sub_f32_e32 v98, v98, v99
	v_sub_f32_e32 v13, v89, v90
	;; [unrolled: 1-line block ×3, first 2 shown]
	v_fmac_f32_e32 v11, 0x3f737871, v97
	v_add_f32_e32 v9, v38, v89
	v_fmac_f32_e32 v12, 0xbf167918, v98
	v_add_f32_e32 v13, v13, v99
	;; [unrolled: 2-line block ×3, first 2 shown]
	v_fmac_f32_e32 v12, 0x3e9e377a, v13
	v_fmac_f32_e32 v11, 0x3e9e377a, v13
	v_add_f32_e32 v13, v89, v94
	v_sub_f32_e32 v89, v90, v89
	v_sub_f32_e32 v90, v91, v94
	v_fmac_f32_e32 v38, -0.5, v13
	v_add_f32_e32 v89, v89, v90
	v_add_f32_e32 v90, v93, v95
	;; [unrolled: 1-line block ×3, first 2 shown]
	v_mov_b32_e32 v13, v38
	v_fma_f32 v90, -0.5, v90, v26
	v_add_f32_e32 v9, v9, v94
	v_fmac_f32_e32 v13, 0x3f737871, v98
	v_fmac_f32_e32 v38, 0xbf737871, v98
	v_sub_f32_e32 v91, v62, v88
	v_mov_b32_e32 v94, v90
	v_fmac_f32_e32 v13, 0xbf167918, v97
	v_fmac_f32_e32 v38, 0x3f167918, v97
	;; [unrolled: 1-line block ×3, first 2 shown]
	v_sub_f32_e32 v97, v63, v64
	v_sub_f32_e32 v98, v92, v93
	;; [unrolled: 1-line block ×3, first 2 shown]
	v_fmac_f32_e32 v90, 0xbf737871, v91
	v_fmac_f32_e32 v94, 0x3f167918, v97
	v_add_f32_e32 v98, v98, v99
	v_fmac_f32_e32 v90, 0xbf167918, v97
	v_fmac_f32_e32 v94, 0x3e9e377a, v98
	;; [unrolled: 1-line block ×3, first 2 shown]
	v_add_f32_e32 v98, v92, v96
	v_fmac_f32_e32 v13, 0x3e9e377a, v89
	v_fmac_f32_e32 v38, 0x3e9e377a, v89
	v_add_f32_e32 v89, v26, v92
	v_fmac_f32_e32 v26, -0.5, v98
	v_mov_b32_e32 v98, v26
	v_add_f32_e32 v89, v89, v93
	v_fmac_f32_e32 v98, 0xbf737871, v97
	v_fmac_f32_e32 v26, 0x3f737871, v97
	v_add_f32_e32 v97, v63, v64
	v_add_f32_e32 v89, v89, v95
	v_sub_f32_e32 v99, v93, v92
	v_sub_f32_e32 v100, v95, v96
	v_fma_f32 v97, -0.5, v97, v39
	v_add_f32_e32 v89, v89, v96
	v_fmac_f32_e32 v98, 0x3f167918, v91
	v_add_f32_e32 v99, v99, v100
	v_fmac_f32_e32 v26, 0xbf167918, v91
	v_sub_f32_e32 v92, v92, v96
	v_mov_b32_e32 v96, v97
	v_fmac_f32_e32 v98, 0x3e9e377a, v99
	v_fmac_f32_e32 v26, 0x3e9e377a, v99
	v_fmac_f32_e32 v96, 0xbf737871, v92
	v_sub_f32_e32 v93, v93, v95
	v_sub_f32_e32 v95, v62, v63
	;; [unrolled: 1-line block ×3, first 2 shown]
	v_fmac_f32_e32 v97, 0x3f737871, v92
	v_add_f32_e32 v91, v39, v62
	v_fmac_f32_e32 v96, 0xbf167918, v93
	v_add_f32_e32 v95, v95, v99
	;; [unrolled: 2-line block ×3, first 2 shown]
	v_fmac_f32_e32 v96, 0x3e9e377a, v95
	v_fmac_f32_e32 v97, 0x3e9e377a, v95
	v_add_f32_e32 v95, v62, v88
	v_sub_f32_e32 v62, v63, v62
	v_sub_f32_e32 v63, v64, v88
	v_fmac_f32_e32 v39, -0.5, v95
	v_add_f32_e32 v62, v62, v63
	v_add_f32_e32 v63, v58, v60
	;; [unrolled: 1-line block ×3, first 2 shown]
	v_mov_b32_e32 v95, v39
	v_fma_f32 v63, -0.5, v63, v27
	v_add_f32_e32 v91, v91, v88
	v_fmac_f32_e32 v95, 0x3f737871, v93
	v_fmac_f32_e32 v39, 0xbf737871, v93
	v_sub_f32_e32 v64, v52, v56
	v_mov_b32_e32 v88, v63
	v_fmac_f32_e32 v95, 0xbf167918, v92
	v_fmac_f32_e32 v39, 0x3f167918, v92
	;; [unrolled: 1-line block ×3, first 2 shown]
	v_sub_f32_e32 v92, v54, v55
	v_sub_f32_e32 v93, v57, v58
	;; [unrolled: 1-line block ×3, first 2 shown]
	v_fmac_f32_e32 v63, 0xbf737871, v64
	v_fmac_f32_e32 v88, 0x3f167918, v92
	v_add_f32_e32 v93, v93, v99
	v_fmac_f32_e32 v63, 0xbf167918, v92
	v_fmac_f32_e32 v88, 0x3e9e377a, v93
	;; [unrolled: 1-line block ×3, first 2 shown]
	v_add_f32_e32 v93, v57, v61
	v_fmac_f32_e32 v95, 0x3e9e377a, v62
	v_fmac_f32_e32 v39, 0x3e9e377a, v62
	v_add_f32_e32 v62, v27, v57
	v_fmac_f32_e32 v27, -0.5, v93
	v_mov_b32_e32 v93, v27
	v_add_f32_e32 v62, v62, v58
	v_fmac_f32_e32 v93, 0xbf737871, v92
	v_fmac_f32_e32 v27, 0x3f737871, v92
	v_add_f32_e32 v92, v54, v55
	v_add_f32_e32 v62, v62, v60
	v_sub_f32_e32 v99, v58, v57
	v_sub_f32_e32 v100, v60, v61
	v_fma_f32 v92, -0.5, v92, v40
	v_add_f32_e32 v62, v62, v61
	v_fmac_f32_e32 v93, 0x3f167918, v64
	v_add_f32_e32 v99, v99, v100
	v_fmac_f32_e32 v27, 0xbf167918, v64
	v_sub_f32_e32 v57, v57, v61
	v_mov_b32_e32 v61, v92
	v_fmac_f32_e32 v93, 0x3e9e377a, v99
	v_fmac_f32_e32 v27, 0x3e9e377a, v99
	;; [unrolled: 1-line block ×3, first 2 shown]
	v_sub_f32_e32 v58, v58, v60
	v_sub_f32_e32 v60, v52, v54
	v_sub_f32_e32 v99, v56, v55
	v_fmac_f32_e32 v92, 0x3f737871, v57
	v_add_f32_e32 v64, v40, v52
	v_fmac_f32_e32 v61, 0xbf167918, v58
	v_add_f32_e32 v60, v60, v99
	;; [unrolled: 2-line block ×3, first 2 shown]
	v_fmac_f32_e32 v61, 0x3e9e377a, v60
	v_fmac_f32_e32 v92, 0x3e9e377a, v60
	v_add_f32_e32 v60, v52, v56
	v_sub_f32_e32 v52, v54, v52
	v_sub_f32_e32 v54, v55, v56
	v_fmac_f32_e32 v40, -0.5, v60
	v_add_f32_e32 v52, v52, v54
	v_add_f32_e32 v54, v44, v50
	;; [unrolled: 1-line block ×3, first 2 shown]
	v_mov_b32_e32 v60, v40
	v_fma_f32 v54, -0.5, v54, v30
	v_add_f32_e32 v64, v64, v56
	v_fmac_f32_e32 v60, 0x3f737871, v58
	v_fmac_f32_e32 v40, 0xbf737871, v58
	v_sub_f32_e32 v55, v33, v36
	v_mov_b32_e32 v56, v54
	v_fmac_f32_e32 v60, 0xbf167918, v57
	v_fmac_f32_e32 v40, 0x3f167918, v57
	;; [unrolled: 1-line block ×3, first 2 shown]
	v_sub_f32_e32 v57, v34, v35
	v_sub_f32_e32 v58, v37, v44
	;; [unrolled: 1-line block ×3, first 2 shown]
	v_fmac_f32_e32 v54, 0xbf737871, v55
	v_fmac_f32_e32 v56, 0x3f167918, v57
	v_add_f32_e32 v58, v58, v99
	v_fmac_f32_e32 v54, 0xbf167918, v57
	v_fmac_f32_e32 v56, 0x3e9e377a, v58
	;; [unrolled: 1-line block ×3, first 2 shown]
	v_add_f32_e32 v58, v37, v51
	v_fmac_f32_e32 v60, 0x3e9e377a, v52
	v_fmac_f32_e32 v40, 0x3e9e377a, v52
	v_add_f32_e32 v52, v30, v37
	v_fmac_f32_e32 v30, -0.5, v58
	v_mov_b32_e32 v58, v30
	v_fmac_f32_e32 v58, 0xbf737871, v57
	v_fmac_f32_e32 v30, 0x3f737871, v57
	;; [unrolled: 1-line block ×4, first 2 shown]
	v_add_f32_e32 v55, v42, v33
	v_add_f32_e32 v55, v55, v34
	v_sub_f32_e32 v99, v44, v37
	v_sub_f32_e32 v100, v50, v51
	v_add_f32_e32 v55, v55, v35
	v_add_f32_e32 v99, v99, v100
	;; [unrolled: 1-line block ×5, first 2 shown]
	v_fmac_f32_e32 v58, 0x3e9e377a, v99
	v_fmac_f32_e32 v30, 0x3e9e377a, v99
	v_fma_f32 v99, -0.5, v55, v42
	v_add_f32_e32 v52, v52, v50
	v_sub_f32_e32 v37, v37, v51
	v_mov_b32_e32 v100, v99
	v_add_f32_e32 v52, v52, v51
	v_fmac_f32_e32 v100, 0xbf737871, v37
	v_sub_f32_e32 v44, v44, v50
	v_sub_f32_e32 v50, v33, v34
	;; [unrolled: 1-line block ×3, first 2 shown]
	v_fmac_f32_e32 v99, 0x3f737871, v37
	v_fmac_f32_e32 v100, 0xbf167918, v44
	v_add_f32_e32 v50, v50, v51
	v_fmac_f32_e32 v99, 0x3f167918, v44
	v_fmac_f32_e32 v100, 0x3e9e377a, v50
	;; [unrolled: 1-line block ×3, first 2 shown]
	v_add_f32_e32 v50, v33, v36
	v_sub_f32_e32 v33, v34, v33
	v_sub_f32_e32 v34, v35, v36
	v_fmac_f32_e32 v42, -0.5, v50
	v_add_f32_e32 v33, v33, v34
	v_add_f32_e32 v34, v14, v18
	v_mov_b32_e32 v107, v42
	v_fma_f32 v34, -0.5, v34, v31
	v_fmac_f32_e32 v107, 0x3f737871, v44
	v_fmac_f32_e32 v42, 0xbf737871, v44
	v_sub_f32_e32 v35, v53, v6
	v_mov_b32_e32 v36, v34
	v_fmac_f32_e32 v107, 0xbf167918, v37
	v_fmac_f32_e32 v42, 0x3f167918, v37
	v_fmac_f32_e32 v36, 0x3f737871, v35
	v_sub_f32_e32 v37, v10, v8
	v_sub_f32_e32 v44, v59, v14
	;; [unrolled: 1-line block ×3, first 2 shown]
	v_fmac_f32_e32 v34, 0xbf737871, v35
	v_fmac_f32_e32 v36, 0x3f167918, v37
	v_add_f32_e32 v44, v44, v50
	v_fmac_f32_e32 v34, 0xbf167918, v37
	v_fmac_f32_e32 v36, 0x3e9e377a, v44
	;; [unrolled: 1-line block ×3, first 2 shown]
	v_add_f32_e32 v44, v59, v16
	v_fmac_f32_e32 v107, 0x3e9e377a, v33
	v_fmac_f32_e32 v42, 0x3e9e377a, v33
	v_add_f32_e32 v33, v31, v59
	v_fmac_f32_e32 v31, -0.5, v44
	v_mov_b32_e32 v44, v31
	v_fmac_f32_e32 v44, 0xbf737871, v37
	v_fmac_f32_e32 v31, 0x3f737871, v37
	;; [unrolled: 1-line block ×4, first 2 shown]
	v_add_f32_e32 v35, v41, v53
	v_add_f32_e32 v35, v35, v10
	;; [unrolled: 1-line block ×7, first 2 shown]
	v_fma_f32 v110, -0.5, v35, v41
	v_add_f32_e32 v33, v33, v16
	v_sub_f32_e32 v50, v14, v59
	v_sub_f32_e32 v51, v18, v16
	;; [unrolled: 1-line block ×3, first 2 shown]
	v_mov_b32_e32 v59, v110
	v_fmac_f32_e32 v59, 0xbf737871, v16
	v_sub_f32_e32 v14, v14, v18
	v_sub_f32_e32 v18, v53, v10
	;; [unrolled: 1-line block ×3, first 2 shown]
	v_fmac_f32_e32 v110, 0x3f737871, v16
	v_fmac_f32_e32 v59, 0xbf167918, v14
	v_add_f32_e32 v18, v18, v35
	v_fmac_f32_e32 v110, 0x3f167918, v14
	v_fmac_f32_e32 v59, 0x3e9e377a, v18
	;; [unrolled: 1-line block ×3, first 2 shown]
	v_add_f32_e32 v18, v53, v6
	v_fmac_f32_e32 v41, -0.5, v18
	v_sub_f32_e32 v6, v8, v6
	v_add_f32_e32 v8, v15, v19
	v_mov_b32_e32 v111, v41
	v_sub_f32_e32 v10, v10, v53
	v_fma_f32 v8, -0.5, v8, v32
	v_fmac_f32_e32 v111, 0x3f737871, v14
	v_add_f32_e32 v6, v10, v6
	v_fmac_f32_e32 v41, 0xbf737871, v14
	v_sub_f32_e32 v10, v5, v7
	v_mov_b32_e32 v14, v8
	v_fmac_f32_e32 v111, 0xbf167918, v16
	v_fmac_f32_e32 v41, 0x3f167918, v16
	;; [unrolled: 1-line block ×3, first 2 shown]
	v_sub_f32_e32 v16, v105, v102
	v_sub_f32_e32 v18, v109, v15
	;; [unrolled: 1-line block ×3, first 2 shown]
	v_fmac_f32_e32 v8, 0xbf737871, v10
	v_fmac_f32_e32 v14, 0x3f167918, v16
	v_add_f32_e32 v18, v18, v35
	v_fmac_f32_e32 v8, 0xbf167918, v16
	v_fmac_f32_e32 v14, 0x3e9e377a, v18
	v_fmac_f32_e32 v8, 0x3e9e377a, v18
	v_add_f32_e32 v18, v109, v17
	v_fmac_f32_e32 v111, 0x3e9e377a, v6
	v_fmac_f32_e32 v41, 0x3e9e377a, v6
	v_add_f32_e32 v6, v32, v109
	v_fmac_f32_e32 v32, -0.5, v18
	v_mov_b32_e32 v18, v32
	v_fmac_f32_e32 v18, 0xbf737871, v16
	v_fmac_f32_e32 v32, 0x3f737871, v16
	;; [unrolled: 1-line block ×4, first 2 shown]
	v_add_f32_e32 v10, v43, v5
	v_add_f32_e32 v10, v10, v105
	;; [unrolled: 1-line block ×6, first 2 shown]
	v_fma_f32 v113, -0.5, v10, v43
	v_add_f32_e32 v6, v6, v19
	v_sub_f32_e32 v35, v15, v109
	v_sub_f32_e32 v10, v109, v17
	v_mov_b32_e32 v109, v113
	v_add_f32_e32 v6, v6, v17
	v_sub_f32_e32 v37, v19, v17
	v_fmac_f32_e32 v109, 0xbf737871, v10
	v_sub_f32_e32 v15, v15, v19
	v_sub_f32_e32 v16, v5, v105
	;; [unrolled: 1-line block ×3, first 2 shown]
	v_fmac_f32_e32 v113, 0x3f737871, v10
	v_fmac_f32_e32 v109, 0xbf167918, v15
	v_add_f32_e32 v16, v16, v17
	v_fmac_f32_e32 v113, 0x3f167918, v15
	v_fmac_f32_e32 v109, 0x3e9e377a, v16
	;; [unrolled: 1-line block ×3, first 2 shown]
	v_add_f32_e32 v16, v5, v7
	v_fmac_f32_e32 v43, -0.5, v16
	v_mov_b32_e32 v114, v43
	v_add_f32_e32 v50, v50, v51
	v_add_f32_e32 v35, v35, v37
	v_fmac_f32_e32 v114, 0x3f737871, v15
	v_sub_f32_e32 v5, v105, v5
	v_sub_f32_e32 v7, v102, v7
	v_fmac_f32_e32 v43, 0xbf737871, v15
	v_lshl_add_u32 v15, v84, 2, v24
	v_fmac_f32_e32 v44, 0x3e9e377a, v50
	v_fmac_f32_e32 v31, 0x3e9e377a, v50
	;; [unrolled: 1-line block ×5, first 2 shown]
	v_add_f32_e32 v5, v5, v7
	v_fmac_f32_e32 v43, 0x3f167918, v10
	ds_write2_b32 v45, v101, v104 offset1:10
	ds_write2_b32 v45, v106, v25 offset0:20 offset1:30
	ds_write_b32 v45, v103 offset:160
	ds_write2_b32 v20, v89, v94 offset1:10
	ds_write2_b32 v20, v98, v26 offset0:20 offset1:30
	ds_write_b32 v20, v90 offset:160
	ds_write2_b32 v45, v62, v88 offset0:50 offset1:60
	ds_write_b32 v45, v93 offset:280
	ds_write_b32 v15, v27
	ds_write_b32 v45, v63 offset:360
	ds_write2_b32 v20, v52, v56 offset0:50 offset1:60
	ds_write2_b32 v20, v58, v30 offset0:70 offset1:80
	ds_write_b32 v20, v54 offset:360
	v_lshl_add_u32 v58, v4, 2, v24
	v_fmac_f32_e32 v114, 0x3e9e377a, v5
	v_fmac_f32_e32 v43, 0x3e9e377a, v5
	ds_write2_b32 v2, v33, v36 offset0:100 offset1:110
	ds_write2_b32 v2, v44, v31 offset0:120 offset1:130
	ds_write_b32 v2, v34 offset:560
	ds_write2_b32 v58, v6, v14 offset0:100 offset1:110
	ds_write2_b32 v58, v18, v32 offset0:120 offset1:130
	ds_write_b32 v58, v8 offset:560
	s_waitcnt lgkmcnt(0)
	; wave barrier
	s_waitcnt lgkmcnt(0)
	ds_read_b32 v44, v46
	ds_read2_b32 v[18:19], v45 offset0:50 offset1:55
	ds_read2_b32 v[24:25], v45 offset0:60 offset1:65
	;; [unrolled: 1-line block ×3, first 2 shown]
	ds_read_b32 v50, v20
	ds_read_b32 v51, v22
	ds_read2_b32 v[26:27], v45 offset0:110 offset1:115
	ds_read_b32 v52, v28
	ds_read_b32 v53, v47
	ds_read2_b32 v[32:33], v45 offset0:70 offset1:75
	ds_read2_b32 v[30:31], v45 offset0:120 offset1:125
	ds_read_b32 v54, v48
	ds_read_b32 v55, v49
	ds_read2_b32 v[36:37], v45 offset0:80 offset1:85
	;; [unrolled: 4-line block ×3, first 2 shown]
	ds_read2_b32 v[6:7], v45 offset0:140 offset1:145
	ds_read_b32 v8, v29
	s_waitcnt lgkmcnt(0)
	; wave barrier
	s_waitcnt lgkmcnt(0)
	ds_write2_b32 v45, v9, v12 offset1:10
	ds_write2_b32 v45, v13, v38 offset0:20 offset1:30
	ds_write_b32 v45, v11 offset:160
	ds_write2_b32 v20, v91, v96 offset1:10
	ds_write2_b32 v20, v95, v39 offset0:20 offset1:30
	ds_write_b32 v20, v97 offset:160
	ds_write2_b32 v45, v64, v61 offset0:50 offset1:60
	ds_write_b32 v45, v60 offset:280
	ds_write_b32 v15, v40
	ds_write_b32 v45, v92 offset:360
	ds_write2_b32 v20, v57, v100 offset0:50 offset1:60
	ds_write2_b32 v20, v107, v42 offset0:70 offset1:80
	ds_write_b32 v20, v99 offset:360
	ds_write2_b32 v2, v108, v59 offset0:100 offset1:110
	ds_write2_b32 v2, v111, v41 offset0:120 offset1:130
	;; [unrolled: 3-line block ×3, first 2 shown]
	ds_write_b32 v58, v113 offset:560
	s_waitcnt lgkmcnt(0)
	; wave barrier
	s_waitcnt lgkmcnt(0)
	s_and_saveexec_b64 s[0:1], vcc
	s_cbranch_execz .LBB0_14
; %bb.13:
	v_lshlrev_b32_e32 v2, 1, v87
	v_lshlrev_b64 v[11:12], 3, v[2:3]
	v_lshlrev_b32_e32 v2, 1, v86
	v_mov_b32_e32 v40, s9
	v_add_co_u32_e32 v11, vcc, s8, v11
	v_lshlrev_b64 v[38:39], 3, v[2:3]
	v_addc_co_u32_e32 v12, vcc, v40, v12, vcc
	v_add_co_u32_e32 v38, vcc, s8, v38
	global_load_dwordx4 v[11:14], v[11:12], off offset:320
	v_addc_co_u32_e32 v39, vcc, v40, v39, vcc
	global_load_dwordx4 v[57:60], v[38:39], off offset:320
	v_lshlrev_b32_e32 v2, 1, v85
	v_lshlrev_b64 v[38:39], 3, v[2:3]
	v_lshlrev_b32_e32 v2, 1, v82
	v_add_co_u32_e32 v38, vcc, s8, v38
	v_addc_co_u32_e32 v39, vcc, v40, v39, vcc
	global_load_dwordx4 v[61:64], v[38:39], off offset:320
	ds_read2_b32 v[38:39], v45 offset0:90 offset1:95
	ds_read2_b32 v[41:42], v45 offset0:140 offset1:145
	ds_read2_b32 v[90:91], v45 offset0:80 offset1:85
	ds_read2_b32 v[92:93], v45 offset0:130 offset1:135
	ds_read_b32 v9, v29
	ds_read_b32 v94, v28
	;; [unrolled: 1-line block ×4, first 2 shown]
	v_lshlrev_b64 v[22:23], 3, v[2:3]
	v_lshlrev_b32_e32 v2, 1, v83
	v_add_co_u32_e32 v22, vcc, s8, v22
	v_addc_co_u32_e32 v23, vcc, v40, v23, vcc
	global_load_dwordx4 v[82:85], v[22:23], off offset:320
	v_lshlrev_b64 v[28:29], 3, v[2:3]
	v_add_co_u32_e32 v22, vcc, s8, v28
	v_addc_co_u32_e32 v23, vcc, v40, v29, vcc
	global_load_dwordx4 v[86:89], v[22:23], off offset:320
	s_waitcnt vmcnt(4) lgkmcnt(7)
	v_mul_f32_e32 v2, v39, v12
	s_waitcnt lgkmcnt(6)
	v_mul_f32_e32 v22, v42, v14
	v_mul_f32_e32 v14, v7, v14
	v_mul_f32_e32 v12, v5, v12
	v_fma_f32 v2, v5, v11, -v2
	v_fma_f32 v5, v7, v13, -v22
	v_fmac_f32_e32 v14, v13, v42
	s_waitcnt vmcnt(3)
	v_mul_f32_e32 v13, v4, v58
	v_mul_f32_e32 v22, v6, v60
	v_fmac_f32_e32 v12, v11, v39
	v_mul_f32_e32 v11, v41, v60
	v_fmac_f32_e32 v13, v57, v38
	v_fmac_f32_e32 v22, v59, v41
	v_mul_f32_e32 v7, v38, v58
	v_add_f32_e32 v28, v12, v14
	v_fma_f32 v43, v6, v59, -v11
	v_add_f32_e32 v11, v13, v22
	v_sub_f32_e32 v23, v2, v5
	s_waitcnt lgkmcnt(3)
	v_add_f32_e32 v29, v12, v9
	v_add_f32_e32 v39, v2, v5
	v_sub_f32_e32 v42, v12, v14
	v_add_f32_e32 v2, v8, v2
	v_fma_f32 v4, v4, v57, -v7
	v_fma_f32 v7, -0.5, v28, v9
	s_waitcnt lgkmcnt(1)
	v_add_f32_e32 v12, v13, v15
	v_sub_f32_e32 v28, v13, v22
	v_fma_f32 v13, -0.5, v11, v15
	v_fma_f32 v6, -0.5, v39, v8
	v_add_f32_e32 v8, v2, v5
	v_sub_f32_e32 v2, v4, v43
	v_mov_b32_e32 v11, v13
	v_fmac_f32_e32 v13, 0xbf5db3d7, v2
	v_fmac_f32_e32 v11, 0x3f5db3d7, v2
	s_waitcnt vmcnt(2)
	v_mul_f32_e32 v2, v91, v62
	ds_read_b32 v41, v21
	v_fma_f32 v38, v37, v61, -v2
	v_mul_f32_e32 v2, v93, v64
	v_fma_f32 v39, v35, v63, -v2
	v_mul_f32_e32 v37, v37, v62
	v_mul_f32_e32 v35, v35, v64
	v_add_f32_e32 v9, v14, v29
	v_add_f32_e32 v14, v4, v43
	v_fmac_f32_e32 v37, v61, v91
	ds_read_b32 v91, v20
	v_fmac_f32_e32 v35, v63, v93
	v_mov_b32_e32 v5, v7
	v_add_f32_e32 v15, v22, v12
	v_fma_f32 v12, -0.5, v14, v10
	v_add_f32_e32 v2, v37, v35
	v_add_f32_e32 v29, v10, v4
	v_fmac_f32_e32 v7, 0xbf5db3d7, v23
	v_fmac_f32_e32 v5, 0x3f5db3d7, v23
	v_mov_b32_e32 v10, v12
	s_waitcnt lgkmcnt(1)
	v_fma_f32 v23, -0.5, v2, v41
	v_lshlrev_b32_e32 v2, 1, v81
	v_fmac_f32_e32 v12, 0x3f5db3d7, v28
	v_fmac_f32_e32 v10, 0xbf5db3d7, v28
	v_add_f32_e32 v14, v29, v43
	v_lshlrev_b64 v[28:29], 3, v[2:3]
	v_add_f32_e32 v2, v37, v41
	v_add_co_u32_e32 v28, vcc, s8, v28
	v_addc_co_u32_e32 v29, vcc, v40, v29, vcc
	global_load_dwordx4 v[57:60], v[28:29], off offset:320
	v_sub_f32_e32 v22, v38, v39
	v_mov_b32_e32 v21, v23
	v_add_f32_e32 v29, v35, v2
	v_add_f32_e32 v2, v38, v39
	v_fmac_f32_e32 v21, 0x3f5db3d7, v22
	v_fmac_f32_e32 v23, 0xbf5db3d7, v22
	v_fma_f32 v22, -0.5, v2, v56
	v_sub_f32_e32 v2, v37, v35
	v_mov_b32_e32 v20, v22
	v_fmac_f32_e32 v20, 0xbf5db3d7, v2
	v_fmac_f32_e32 v22, 0x3f5db3d7, v2
	v_add_f32_e32 v2, v56, v38
	v_add_f32_e32 v28, v2, v39
	s_waitcnt vmcnt(2)
	v_mul_f32_e32 v2, v90, v83
	v_fma_f32 v38, v36, v82, -v2
	v_mul_f32_e32 v41, v36, v83
	ds_read_b32 v36, v49
	v_mul_f32_e32 v2, v92, v85
	v_fma_f32 v43, v34, v84, -v2
	v_mul_f32_e32 v34, v34, v85
	v_fmac_f32_e32 v41, v82, v90
	ds_read_b32 v90, v46
	v_fmac_f32_e32 v34, v84, v92
	v_add_f32_e32 v35, v41, v34
	s_waitcnt lgkmcnt(1)
	v_fma_f32 v37, -0.5, v35, v36
	v_sub_f32_e32 v2, v38, v43
	v_mov_b32_e32 v35, v37
	v_fmac_f32_e32 v35, 0x3f5db3d7, v2
	v_fmac_f32_e32 v37, 0xbf5db3d7, v2
	v_add_f32_e32 v2, v41, v36
	v_add_f32_e32 v39, v34, v2
	;; [unrolled: 1-line block ×3, first 2 shown]
	v_mov_b32_e32 v4, v6
	v_fma_f32 v36, -0.5, v2, v55
	v_lshlrev_b32_e32 v2, 1, v80
	v_fmac_f32_e32 v6, 0x3f5db3d7, v42
	v_fmac_f32_e32 v4, 0xbf5db3d7, v42
	v_sub_f32_e32 v46, v41, v34
	v_lshlrev_b64 v[41:42], 3, v[2:3]
	ds_read2_b32 v[82:83], v45 offset0:120 offset1:125
	v_add_co_u32_e32 v41, vcc, s8, v41
	v_addc_co_u32_e32 v42, vcc, v40, v42, vcc
	global_load_dwordx4 v[61:64], v[41:42], off offset:320
	ds_read2_b32 v[41:42], v45 offset0:70 offset1:75
	v_add_f32_e32 v2, v55, v38
	v_add_f32_e32 v38, v2, v43
	v_mov_b32_e32 v34, v36
	v_fmac_f32_e32 v34, 0xbf5db3d7, v46
	s_waitcnt vmcnt(2) lgkmcnt(0)
	v_mul_f32_e32 v2, v42, v87
	v_fma_f32 v80, v33, v86, -v2
	v_mul_f32_e32 v2, v83, v89
	v_fma_f32 v81, v31, v88, -v2
	v_mul_f32_e32 v31, v31, v89
	v_mul_f32_e32 v33, v33, v87
	v_fmac_f32_e32 v31, v88, v83
	ds_read_b32 v83, v48
	ds_read_b32 v85, v47
	v_lshlrev_b32_e32 v2, 1, v79
	v_fmac_f32_e32 v33, v86, v42
	v_lshlrev_b64 v[42:43], 3, v[2:3]
	v_add_f32_e32 v56, v33, v31
	v_add_co_u32_e32 v42, vcc, s8, v42
	v_addc_co_u32_e32 v43, vcc, v40, v43, vcc
	s_waitcnt lgkmcnt(1)
	v_add_f32_e32 v2, v33, v83
	v_fmac_f32_e32 v36, 0x3f5db3d7, v46
	global_load_dwordx4 v[46:49], v[42:43], off offset:320
	v_fma_f32 v43, -0.5, v56, v83
	v_add_f32_e32 v84, v31, v2
	v_add_f32_e32 v2, v80, v81
	v_sub_f32_e32 v55, v80, v81
	v_mov_b32_e32 v56, v43
	v_fma_f32 v42, -0.5, v2, v54
	v_fmac_f32_e32 v56, 0x3f5db3d7, v55
	v_fmac_f32_e32 v43, 0xbf5db3d7, v55
	v_sub_f32_e32 v2, v33, v31
	v_mov_b32_e32 v55, v42
	v_fmac_f32_e32 v55, 0xbf5db3d7, v2
	v_fmac_f32_e32 v42, 0x3f5db3d7, v2
	v_add_f32_e32 v2, v54, v80
	v_add_f32_e32 v83, v2, v81
	s_waitcnt vmcnt(2)
	v_mul_f32_e32 v2, v41, v58
	v_fma_f32 v54, v32, v57, -v2
	v_mul_f32_e32 v2, v82, v60
	v_fma_f32 v86, v30, v59, -v2
	v_lshlrev_b32_e32 v2, 1, v78
	v_lshlrev_b64 v[78:79], 3, v[2:3]
	v_mul_f32_e32 v31, v32, v58
	v_add_co_u32_e32 v78, vcc, s8, v78
	v_mul_f32_e32 v30, v30, v60
	v_addc_co_u32_e32 v79, vcc, v40, v79, vcc
	v_fmac_f32_e32 v31, v57, v41
	v_fmac_f32_e32 v30, v59, v82
	global_load_dwordx4 v[78:81], v[78:79], off offset:320
	v_add_f32_e32 v32, v31, v30
	s_waitcnt lgkmcnt(0)
	v_fma_f32 v58, -0.5, v32, v85
	v_sub_f32_e32 v2, v54, v86
	v_mov_b32_e32 v60, v58
	v_fmac_f32_e32 v60, 0x3f5db3d7, v2
	v_fmac_f32_e32 v58, 0xbf5db3d7, v2
	v_add_f32_e32 v2, v31, v85
	v_add_f32_e32 v41, v30, v2
	;; [unrolled: 1-line block ×3, first 2 shown]
	v_fma_f32 v57, -0.5, v2, v53
	v_lshlrev_b32_e32 v2, 1, v66
	v_lshlrev_b64 v[2:3], 3, v[2:3]
	v_sub_f32_e32 v82, v31, v30
	v_add_co_u32_e32 v2, vcc, s8, v2
	v_addc_co_u32_e32 v3, vcc, v40, v3, vcc
	global_load_dwordx4 v[30:33], v[2:3], off offset:320
	ds_read2_b32 v[2:3], v45 offset0:60 offset1:65
	v_add_f32_e32 v40, v53, v54
	ds_read2_b32 v[53:54], v45 offset0:110 offset1:115
	v_mov_b32_e32 v59, v57
	v_fmac_f32_e32 v59, 0xbf5db3d7, v82
	v_fmac_f32_e32 v57, 0x3f5db3d7, v82
	v_add_f32_e32 v40, v40, v86
	ds_read2_b32 v[85:86], v45 offset0:50 offset1:55
	s_waitcnt vmcnt(3) lgkmcnt(2)
	v_mul_f32_e32 v82, v3, v62
	v_fma_f32 v82, v25, v61, -v82
	v_mul_f32_e32 v25, v25, v62
	v_fmac_f32_e32 v25, v61, v3
	v_mul_f32_e32 v3, v27, v64
	s_waitcnt lgkmcnt(1)
	v_mul_f32_e32 v87, v54, v64
	v_fmac_f32_e32 v3, v63, v54
	v_fma_f32 v87, v27, v63, -v87
	v_add_f32_e32 v27, v25, v3
	v_fma_f32 v62, -0.5, v27, v94
	v_sub_f32_e32 v88, v82, v87
	v_mov_b32_e32 v64, v62
	v_add_f32_e32 v27, v25, v94
	v_fmac_f32_e32 v64, 0x3f5db3d7, v88
	v_fmac_f32_e32 v62, 0xbf5db3d7, v88
	v_add_f32_e32 v88, v3, v27
	v_add_f32_e32 v27, v82, v87
	v_fma_f32 v61, -0.5, v27, v52
	v_sub_f32_e32 v3, v25, v3
	v_mov_b32_e32 v63, v61
	v_fmac_f32_e32 v63, 0xbf5db3d7, v3
	v_fmac_f32_e32 v61, 0x3f5db3d7, v3
	v_add_f32_e32 v3, v52, v82
	v_add_f32_e32 v87, v3, v87
	s_waitcnt vmcnt(2)
	v_mul_f32_e32 v3, v2, v47
	v_fma_f32 v52, v24, v46, -v3
	v_mul_f32_e32 v3, v53, v49
	v_fma_f32 v54, v26, v48, -v3
	v_mul_f32_e32 v24, v24, v47
	v_mul_f32_e32 v26, v26, v49
	v_fmac_f32_e32 v24, v46, v2
	v_fmac_f32_e32 v26, v48, v53
	v_add_f32_e32 v2, v24, v26
	v_fma_f32 v3, -0.5, v2, v95
	ds_read2_b32 v[45:46], v45 offset0:100 offset1:105
	v_sub_f32_e32 v27, v52, v54
	v_mov_b32_e32 v25, v3
	v_add_f32_e32 v2, v24, v95
	v_fmac_f32_e32 v25, 0x3f5db3d7, v27
	v_fmac_f32_e32 v3, 0xbf5db3d7, v27
	v_add_f32_e32 v27, v26, v2
	v_add_f32_e32 v2, v52, v54
	v_fma_f32 v2, -0.5, v2, v51
	v_sub_f32_e32 v26, v24, v26
	v_mov_b32_e32 v24, v2
	v_fmac_f32_e32 v24, 0xbf5db3d7, v26
	v_fmac_f32_e32 v2, 0x3f5db3d7, v26
	v_add_f32_e32 v26, v51, v52
	v_add_f32_e32 v26, v26, v54
	v_add_co_u32_e32 v0, vcc, s12, v0
	s_waitcnt vmcnt(1) lgkmcnt(1)
	v_mul_f32_e32 v47, v86, v79
	v_fma_f32 v52, v19, v78, -v47
	s_waitcnt lgkmcnt(0)
	v_mul_f32_e32 v47, v46, v81
	v_fma_f32 v53, v17, v80, -v47
	v_mul_f32_e32 v19, v19, v79
	v_mul_f32_e32 v17, v17, v81
	v_fmac_f32_e32 v19, v78, v86
	v_fmac_f32_e32 v17, v80, v46
	v_add_f32_e32 v46, v19, v17
	v_fma_f32 v47, -0.5, v46, v91
	v_add_f32_e32 v46, v19, v91
	v_add_f32_e32 v51, v17, v46
	;; [unrolled: 1-line block ×3, first 2 shown]
	v_sub_f32_e32 v48, v52, v53
	v_mov_b32_e32 v49, v47
	v_fma_f32 v46, -0.5, v46, v50
	v_fmac_f32_e32 v49, 0x3f5db3d7, v48
	v_fmac_f32_e32 v47, 0xbf5db3d7, v48
	v_sub_f32_e32 v17, v19, v17
	v_mov_b32_e32 v48, v46
	v_fmac_f32_e32 v48, 0xbf5db3d7, v17
	v_fmac_f32_e32 v46, 0x3f5db3d7, v17
	v_add_f32_e32 v17, v50, v52
	v_add_f32_e32 v50, v17, v53
	s_waitcnt vmcnt(0)
	v_mul_f32_e32 v17, v85, v31
	v_fma_f32 v54, v18, v30, -v17
	v_mul_f32_e32 v18, v18, v31
	v_mul_f32_e32 v17, v45, v33
	v_fmac_f32_e32 v18, v30, v85
	v_mul_f32_e32 v30, v16, v33
	v_fma_f32 v78, v16, v32, -v17
	v_fmac_f32_e32 v30, v32, v45
	v_mad_u64_u32 v[32:33], s[0:1], s2, v66, 0
	v_add_f32_e32 v16, v18, v30
	v_fma_f32 v17, -0.5, v16, v90
	v_add_f32_e32 v16, v18, v90
	v_add_f32_e32 v31, v30, v16
	;; [unrolled: 1-line block ×3, first 2 shown]
	v_sub_f32_e32 v52, v54, v78
	v_mov_b32_e32 v19, v17
	v_fma_f32 v16, -0.5, v16, v44
	v_sub_f32_e32 v45, v18, v30
	v_mov_b32_e32 v30, v33
	v_fmac_f32_e32 v19, 0x3f5db3d7, v52
	v_fmac_f32_e32 v17, 0xbf5db3d7, v52
	v_mov_b32_e32 v18, v16
	v_mad_u64_u32 v[52:53], s[0:1], s3, v66, v[30:31]
	v_fmac_f32_e32 v18, 0xbf5db3d7, v45
	v_fmac_f32_e32 v16, 0x3f5db3d7, v45
	v_add_f32_e32 v30, v44, v54
	v_mad_u64_u32 v[44:45], s[0:1], s2, v76, 0
	v_mov_b32_e32 v33, v52
	v_mov_b32_e32 v52, s13
	v_addc_co_u32_e32 v1, vcc, v52, v1, vcc
	v_mad_u64_u32 v[52:53], s[0:1], s3, v76, v[45:46]
	v_lshlrev_b64 v[32:33], 3, v[32:33]
	v_add_f32_e32 v30, v30, v78
	v_add_co_u32_e32 v32, vcc, v0, v32
	v_addc_co_u32_e32 v33, vcc, v1, v33, vcc
	v_mov_b32_e32 v45, v52
	global_store_dwordx2 v[32:33], v[30:31], off
	v_lshlrev_b64 v[30:31], 3, v[44:45]
	v_add_u32_e32 v44, 0x64, v66
	v_mad_u64_u32 v[32:33], s[0:1], s2, v44, 0
	v_add_co_u32_e32 v30, vcc, v0, v30
	v_addc_co_u32_e32 v31, vcc, v1, v31, vcc
	global_store_dwordx2 v[30:31], v[16:17], off
	v_mov_b32_e32 v16, v33
	v_mad_u64_u32 v[16:17], s[0:1], s3, v44, v[16:17]
	v_mad_u64_u32 v[30:31], s[0:1], s2, v75, 0
	v_mov_b32_e32 v33, v16
	v_lshlrev_b64 v[16:17], 3, v[32:33]
	v_mad_u64_u32 v[31:32], s[4:5], s3, v75, v[31:32]
	v_add_co_u32_e32 v16, vcc, v0, v16
	v_addc_co_u32_e32 v17, vcc, v1, v17, vcc
	global_store_dwordx2 v[16:17], v[18:19], off
	v_mad_u64_u32 v[18:19], s[4:5], s2, v77, 0
	v_lshlrev_b64 v[16:17], 3, v[30:31]
	v_add_u32_e32 v33, 0x69, v66
	v_mad_u64_u32 v[30:31], s[4:5], s3, v77, v[19:20]
	v_mad_u64_u32 v[31:32], s[4:5], s2, v33, 0
	v_add_co_u32_e32 v16, vcc, v0, v16
	v_addc_co_u32_e32 v17, vcc, v1, v17, vcc
	v_mov_b32_e32 v19, v30
	global_store_dwordx2 v[16:17], v[50:51], off
	v_lshlrev_b64 v[16:17], 3, v[18:19]
	v_mov_b32_e32 v18, v32
	v_mad_u64_u32 v[18:19], s[4:5], s3, v33, v[18:19]
	v_add_co_u32_e32 v16, vcc, v0, v16
	v_mov_b32_e32 v32, v18
	v_mad_u64_u32 v[18:19], s[4:5], s2, v73, 0
	v_addc_co_u32_e32 v17, vcc, v1, v17, vcc
	global_store_dwordx2 v[16:17], v[46:47], off
	v_lshlrev_b64 v[16:17], 3, v[31:32]
	v_mad_u64_u32 v[30:31], s[4:5], s3, v73, v[19:20]
	v_mad_u64_u32 v[31:32], s[4:5], s2, v74, 0
	v_add_co_u32_e32 v16, vcc, v0, v16
	v_addc_co_u32_e32 v17, vcc, v1, v17, vcc
	v_mov_b32_e32 v19, v30
	global_store_dwordx2 v[16:17], v[48:49], off
	v_lshlrev_b64 v[16:17], 3, v[18:19]
	v_mov_b32_e32 v18, v32
	v_mad_u64_u32 v[18:19], s[4:5], s3, v74, v[18:19]
	v_add_co_u32_e32 v16, vcc, v0, v16
	v_addc_co_u32_e32 v17, vcc, v1, v17, vcc
	global_store_dwordx2 v[16:17], v[26:27], off
	v_add_u32_e32 v26, 0x6e, v66
	v_mov_b32_e32 v32, v18
	v_mad_u64_u32 v[18:19], s[4:5], s2, v26, 0
	v_lshlrev_b64 v[16:17], 3, v[31:32]
	v_mad_u64_u32 v[30:31], s[4:5], s2, v72, 0
	v_add_co_u32_e32 v16, vcc, v0, v16
	v_addc_co_u32_e32 v17, vcc, v1, v17, vcc
	v_mad_u64_u32 v[26:27], s[4:5], s3, v26, v[19:20]
	global_store_dwordx2 v[16:17], v[2:3], off
	v_mov_b32_e32 v16, v31
	v_mad_u64_u32 v[16:17], s[4:5], s3, v72, v[16:17]
	v_mov_b32_e32 v19, v26
	v_lshlrev_b64 v[2:3], 3, v[18:19]
	v_add_u32_e32 v18, 0x41, v66
	v_mov_b32_e32 v31, v16
	v_mad_u64_u32 v[16:17], s[4:5], s2, v18, 0
	v_add_co_u32_e32 v2, vcc, v0, v2
	v_addc_co_u32_e32 v3, vcc, v1, v3, vcc
	global_store_dwordx2 v[2:3], v[24:25], off
	v_mad_u64_u32 v[17:18], s[4:5], s3, v18, v[17:18]
	v_add_u32_e32 v24, 0x73, v66
	v_lshlrev_b64 v[2:3], 3, v[30:31]
	v_mad_u64_u32 v[18:19], s[4:5], s2, v24, 0
	v_add_co_u32_e32 v2, vcc, v0, v2
	v_addc_co_u32_e32 v3, vcc, v1, v3, vcc
	global_store_dwordx2 v[2:3], v[87:88], off
	v_lshlrev_b64 v[2:3], 3, v[16:17]
	v_mov_b32_e32 v16, v19
	v_mad_u64_u32 v[16:17], s[4:5], s3, v24, v[16:17]
	v_add_co_u32_e32 v2, vcc, v0, v2
	v_mov_b32_e32 v19, v16
	v_mad_u64_u32 v[16:17], s[4:5], s2, v71, 0
	v_addc_co_u32_e32 v3, vcc, v1, v3, vcc
	global_store_dwordx2 v[2:3], v[61:62], off
	v_lshlrev_b64 v[2:3], 3, v[18:19]
	v_mad_u64_u32 v[17:18], s[4:5], s3, v71, v[17:18]
	v_add_u32_e32 v24, 0x46, v66
	v_mad_u64_u32 v[18:19], s[4:5], s2, v24, 0
	v_add_co_u32_e32 v2, vcc, v0, v2
	v_addc_co_u32_e32 v3, vcc, v1, v3, vcc
	global_store_dwordx2 v[2:3], v[63:64], off
	v_lshlrev_b64 v[2:3], 3, v[16:17]
	v_mov_b32_e32 v16, v19
	v_mad_u64_u32 v[16:17], s[4:5], s3, v24, v[16:17]
	v_add_co_u32_e32 v2, vcc, v0, v2
	v_addc_co_u32_e32 v3, vcc, v1, v3, vcc
	v_mov_b32_e32 v19, v16
	global_store_dwordx2 v[2:3], v[40:41], off
	v_lshlrev_b64 v[2:3], 3, v[18:19]
	v_or_b32_e32 v18, 0x78, v66
	v_mad_u64_u32 v[16:17], s[4:5], s2, v18, 0
	s_mov_b32 s1, 0x51eb851f
	v_mul_hi_u32 v19, v70, s1
	v_mad_u64_u32 v[17:18], s[4:5], s3, v18, v[17:18]
	s_movk_i32 s0, 0x64
	v_lshrrev_b32_e32 v18, 4, v19
	v_mad_u32_u24 v24, v18, s0, v70
	v_mad_u64_u32 v[18:19], s[4:5], s2, v24, 0
	v_add_co_u32_e32 v2, vcc, v0, v2
	v_addc_co_u32_e32 v3, vcc, v1, v3, vcc
	global_store_dwordx2 v[2:3], v[57:58], off
	v_lshlrev_b64 v[2:3], 3, v[16:17]
	v_mov_b32_e32 v16, v19
	v_mad_u64_u32 v[16:17], s[4:5], s3, v24, v[16:17]
	v_add_co_u32_e32 v2, vcc, v0, v2
	v_addc_co_u32_e32 v3, vcc, v1, v3, vcc
	v_mov_b32_e32 v19, v16
	global_store_dwordx2 v[2:3], v[59:60], off
	v_lshlrev_b64 v[2:3], 3, v[18:19]
	v_add_u32_e32 v18, 50, v24
	v_mad_u64_u32 v[16:17], s[4:5], s2, v18, 0
	v_add_u32_e32 v24, 0x64, v24
	v_add_co_u32_e32 v2, vcc, v0, v2
	v_mad_u64_u32 v[17:18], s[4:5], s3, v18, v[17:18]
	v_mad_u64_u32 v[18:19], s[4:5], s2, v24, 0
	v_addc_co_u32_e32 v3, vcc, v1, v3, vcc
	global_store_dwordx2 v[2:3], v[83:84], off
	v_lshlrev_b64 v[2:3], 3, v[16:17]
	v_mov_b32_e32 v16, v19
	v_mad_u64_u32 v[16:17], s[4:5], s3, v24, v[16:17]
	v_mul_hi_u32 v17, v69, s1
	v_add_co_u32_e32 v2, vcc, v0, v2
	v_mov_b32_e32 v19, v16
	v_lshrrev_b32_e32 v16, 4, v17
	v_mad_u32_u24 v24, v16, s0, v69
	v_mad_u64_u32 v[16:17], s[4:5], s2, v24, 0
	v_addc_co_u32_e32 v3, vcc, v1, v3, vcc
	global_store_dwordx2 v[2:3], v[42:43], off
	v_lshlrev_b64 v[2:3], 3, v[18:19]
	v_mad_u64_u32 v[17:18], s[4:5], s3, v24, v[17:18]
	v_add_u32_e32 v25, 50, v24
	v_mad_u64_u32 v[18:19], s[4:5], s2, v25, 0
	v_add_co_u32_e32 v2, vcc, v0, v2
	v_addc_co_u32_e32 v3, vcc, v1, v3, vcc
	global_store_dwordx2 v[2:3], v[55:56], off
	v_lshlrev_b64 v[2:3], 3, v[16:17]
	v_mov_b32_e32 v16, v19
	v_mad_u64_u32 v[16:17], s[4:5], s3, v25, v[16:17]
	v_add_co_u32_e32 v2, vcc, v0, v2
	v_addc_co_u32_e32 v3, vcc, v1, v3, vcc
	v_mov_b32_e32 v19, v16
	global_store_dwordx2 v[2:3], v[38:39], off
	v_lshlrev_b64 v[2:3], 3, v[18:19]
	v_add_u32_e32 v18, 0x64, v24
	v_mad_u64_u32 v[16:17], s[4:5], s2, v18, 0
	v_add_co_u32_e32 v2, vcc, v0, v2
	v_mad_u64_u32 v[17:18], s[4:5], s3, v18, v[17:18]
	v_mad_u64_u32 v[18:19], s[4:5], s2, v68, 0
	v_addc_co_u32_e32 v3, vcc, v1, v3, vcc
	global_store_dwordx2 v[2:3], v[36:37], off
	v_lshlrev_b64 v[2:3], 3, v[16:17]
	v_mov_b32_e32 v16, v19
	v_mad_u64_u32 v[16:17], s[4:5], s3, v68, v[16:17]
	v_add_co_u32_e32 v2, vcc, v0, v2
	v_addc_co_u32_e32 v3, vcc, v1, v3, vcc
	v_mov_b32_e32 v19, v16
	global_store_dwordx2 v[2:3], v[34:35], off
	v_lshlrev_b64 v[2:3], 3, v[18:19]
	v_add_u32_e32 v18, 0x55, v66
	v_mad_u64_u32 v[16:17], s[4:5], s2, v18, 0
	v_add_u32_e32 v24, 0x87, v66
	v_add_co_u32_e32 v2, vcc, v0, v2
	v_mad_u64_u32 v[17:18], s[4:5], s3, v18, v[17:18]
	v_mad_u64_u32 v[18:19], s[4:5], s2, v24, 0
	v_addc_co_u32_e32 v3, vcc, v1, v3, vcc
	global_store_dwordx2 v[2:3], v[28:29], off
	v_lshlrev_b64 v[2:3], 3, v[16:17]
	v_mov_b32_e32 v16, v19
	v_mad_u64_u32 v[16:17], s[4:5], s3, v24, v[16:17]
	v_add_co_u32_e32 v2, vcc, v0, v2
	v_mov_b32_e32 v19, v16
	v_mad_u64_u32 v[16:17], s[4:5], s2, v67, 0
	v_addc_co_u32_e32 v3, vcc, v1, v3, vcc
	global_store_dwordx2 v[2:3], v[22:23], off
	v_lshlrev_b64 v[2:3], 3, v[18:19]
	v_mad_u64_u32 v[17:18], s[4:5], s3, v67, v[17:18]
	v_add_u32_e32 v22, 0x5a, v66
	v_mad_u64_u32 v[18:19], s[4:5], s2, v22, 0
	v_add_co_u32_e32 v2, vcc, v0, v2
	v_addc_co_u32_e32 v3, vcc, v1, v3, vcc
	global_store_dwordx2 v[2:3], v[20:21], off
	v_lshlrev_b64 v[2:3], 3, v[16:17]
	v_mov_b32_e32 v16, v19
	v_mad_u64_u32 v[16:17], s[4:5], s3, v22, v[16:17]
	v_add_co_u32_e32 v2, vcc, v0, v2
	v_addc_co_u32_e32 v3, vcc, v1, v3, vcc
	v_mov_b32_e32 v19, v16
	v_add_u32_e32 v16, 0x8c, v66
	global_store_dwordx2 v[2:3], v[14:15], off
	v_mad_u64_u32 v[14:15], s[4:5], s2, v16, 0
	v_mul_hi_u32 v17, v65, s1
	v_lshlrev_b64 v[2:3], 3, v[18:19]
	v_mad_u64_u32 v[15:16], s[4:5], s3, v16, v[15:16]
	v_lshrrev_b32_e32 v16, 4, v17
	v_mad_u32_u24 v18, v16, s0, v65
	v_mad_u64_u32 v[16:17], s[0:1], s2, v18, 0
	v_add_co_u32_e32 v2, vcc, v0, v2
	v_addc_co_u32_e32 v3, vcc, v1, v3, vcc
	global_store_dwordx2 v[2:3], v[12:13], off
	v_mov_b32_e32 v12, v17
	v_mad_u64_u32 v[12:13], s[0:1], s3, v18, v[12:13]
	v_lshlrev_b64 v[2:3], 3, v[14:15]
	v_add_u32_e32 v14, 0x64, v18
	v_add_co_u32_e32 v2, vcc, v0, v2
	v_addc_co_u32_e32 v3, vcc, v1, v3, vcc
	v_mov_b32_e32 v17, v12
	v_add_u32_e32 v12, 50, v18
	global_store_dwordx2 v[2:3], v[10:11], off
	v_mad_u64_u32 v[10:11], s[0:1], s2, v12, 0
	v_lshlrev_b64 v[2:3], 3, v[16:17]
	v_mad_u64_u32 v[11:12], s[0:1], s3, v12, v[11:12]
	v_mad_u64_u32 v[12:13], s[0:1], s2, v14, 0
	v_add_co_u32_e32 v2, vcc, v0, v2
	v_addc_co_u32_e32 v3, vcc, v1, v3, vcc
	global_store_dwordx2 v[2:3], v[8:9], off
	v_mov_b32_e32 v8, v13
	v_mad_u64_u32 v[8:9], s[0:1], s3, v14, v[8:9]
	v_lshlrev_b64 v[2:3], 3, v[10:11]
	v_add_co_u32_e32 v2, vcc, v0, v2
	v_addc_co_u32_e32 v3, vcc, v1, v3, vcc
	v_mov_b32_e32 v13, v8
	global_store_dwordx2 v[2:3], v[6:7], off
	v_lshlrev_b64 v[2:3], 3, v[12:13]
	v_add_co_u32_e32 v0, vcc, v0, v2
	v_addc_co_u32_e32 v1, vcc, v1, v3, vcc
	global_store_dwordx2 v[0:1], v[4:5], off
.LBB0_14:
	s_endpgm
	.section	.rodata,"a",@progbits
	.p2align	6, 0x0
	.amdhsa_kernel fft_rtc_fwd_len150_factors_10_5_3_wgs_60_tpt_5_halfLds_sp_ip_CI_sbrr_dirReg
		.amdhsa_group_segment_fixed_size 0
		.amdhsa_private_segment_fixed_size 0
		.amdhsa_kernarg_size 88
		.amdhsa_user_sgpr_count 6
		.amdhsa_user_sgpr_private_segment_buffer 1
		.amdhsa_user_sgpr_dispatch_ptr 0
		.amdhsa_user_sgpr_queue_ptr 0
		.amdhsa_user_sgpr_kernarg_segment_ptr 1
		.amdhsa_user_sgpr_dispatch_id 0
		.amdhsa_user_sgpr_flat_scratch_init 0
		.amdhsa_user_sgpr_private_segment_size 0
		.amdhsa_uses_dynamic_stack 0
		.amdhsa_system_sgpr_private_segment_wavefront_offset 0
		.amdhsa_system_sgpr_workgroup_id_x 1
		.amdhsa_system_sgpr_workgroup_id_y 0
		.amdhsa_system_sgpr_workgroup_id_z 0
		.amdhsa_system_sgpr_workgroup_info 0
		.amdhsa_system_vgpr_workitem_id 0
		.amdhsa_next_free_vgpr 127
		.amdhsa_next_free_sgpr 24
		.amdhsa_reserve_vcc 1
		.amdhsa_reserve_flat_scratch 0
		.amdhsa_float_round_mode_32 0
		.amdhsa_float_round_mode_16_64 0
		.amdhsa_float_denorm_mode_32 3
		.amdhsa_float_denorm_mode_16_64 3
		.amdhsa_dx10_clamp 1
		.amdhsa_ieee_mode 1
		.amdhsa_fp16_overflow 0
		.amdhsa_exception_fp_ieee_invalid_op 0
		.amdhsa_exception_fp_denorm_src 0
		.amdhsa_exception_fp_ieee_div_zero 0
		.amdhsa_exception_fp_ieee_overflow 0
		.amdhsa_exception_fp_ieee_underflow 0
		.amdhsa_exception_fp_ieee_inexact 0
		.amdhsa_exception_int_div_zero 0
	.end_amdhsa_kernel
	.text
.Lfunc_end0:
	.size	fft_rtc_fwd_len150_factors_10_5_3_wgs_60_tpt_5_halfLds_sp_ip_CI_sbrr_dirReg, .Lfunc_end0-fft_rtc_fwd_len150_factors_10_5_3_wgs_60_tpt_5_halfLds_sp_ip_CI_sbrr_dirReg
                                        ; -- End function
	.section	.AMDGPU.csdata,"",@progbits
; Kernel info:
; codeLenInByte = 13096
; NumSgprs: 28
; NumVgprs: 127
; ScratchSize: 0
; MemoryBound: 0
; FloatMode: 240
; IeeeMode: 1
; LDSByteSize: 0 bytes/workgroup (compile time only)
; SGPRBlocks: 3
; VGPRBlocks: 31
; NumSGPRsForWavesPerEU: 28
; NumVGPRsForWavesPerEU: 127
; Occupancy: 2
; WaveLimiterHint : 1
; COMPUTE_PGM_RSRC2:SCRATCH_EN: 0
; COMPUTE_PGM_RSRC2:USER_SGPR: 6
; COMPUTE_PGM_RSRC2:TRAP_HANDLER: 0
; COMPUTE_PGM_RSRC2:TGID_X_EN: 1
; COMPUTE_PGM_RSRC2:TGID_Y_EN: 0
; COMPUTE_PGM_RSRC2:TGID_Z_EN: 0
; COMPUTE_PGM_RSRC2:TIDIG_COMP_CNT: 0
	.type	__hip_cuid_585bc5ebdadc9bc0,@object ; @__hip_cuid_585bc5ebdadc9bc0
	.section	.bss,"aw",@nobits
	.globl	__hip_cuid_585bc5ebdadc9bc0
__hip_cuid_585bc5ebdadc9bc0:
	.byte	0                               ; 0x0
	.size	__hip_cuid_585bc5ebdadc9bc0, 1

	.ident	"AMD clang version 19.0.0git (https://github.com/RadeonOpenCompute/llvm-project roc-6.4.0 25133 c7fe45cf4b819c5991fe208aaa96edf142730f1d)"
	.section	".note.GNU-stack","",@progbits
	.addrsig
	.addrsig_sym __hip_cuid_585bc5ebdadc9bc0
	.amdgpu_metadata
---
amdhsa.kernels:
  - .args:
      - .actual_access:  read_only
        .address_space:  global
        .offset:         0
        .size:           8
        .value_kind:     global_buffer
      - .offset:         8
        .size:           8
        .value_kind:     by_value
      - .actual_access:  read_only
        .address_space:  global
        .offset:         16
        .size:           8
        .value_kind:     global_buffer
      - .actual_access:  read_only
        .address_space:  global
        .offset:         24
        .size:           8
        .value_kind:     global_buffer
      - .offset:         32
        .size:           8
        .value_kind:     by_value
      - .actual_access:  read_only
        .address_space:  global
        .offset:         40
        .size:           8
        .value_kind:     global_buffer
      - .actual_access:  read_only
        .address_space:  global
        .offset:         48
        .size:           8
        .value_kind:     global_buffer
      - .offset:         56
        .size:           4
        .value_kind:     by_value
      - .actual_access:  read_only
        .address_space:  global
        .offset:         64
        .size:           8
        .value_kind:     global_buffer
      - .actual_access:  read_only
        .address_space:  global
        .offset:         72
        .size:           8
        .value_kind:     global_buffer
      - .address_space:  global
        .offset:         80
        .size:           8
        .value_kind:     global_buffer
    .group_segment_fixed_size: 0
    .kernarg_segment_align: 8
    .kernarg_segment_size: 88
    .language:       OpenCL C
    .language_version:
      - 2
      - 0
    .max_flat_workgroup_size: 60
    .name:           fft_rtc_fwd_len150_factors_10_5_3_wgs_60_tpt_5_halfLds_sp_ip_CI_sbrr_dirReg
    .private_segment_fixed_size: 0
    .sgpr_count:     28
    .sgpr_spill_count: 0
    .symbol:         fft_rtc_fwd_len150_factors_10_5_3_wgs_60_tpt_5_halfLds_sp_ip_CI_sbrr_dirReg.kd
    .uniform_work_group_size: 1
    .uses_dynamic_stack: false
    .vgpr_count:     127
    .vgpr_spill_count: 0
    .wavefront_size: 64
amdhsa.target:   amdgcn-amd-amdhsa--gfx906
amdhsa.version:
  - 1
  - 2
...

	.end_amdgpu_metadata
